;; amdgpu-corpus repo=ROCm/aiter kind=harvested arch=n/a opt=n/a

/root/src/amdgpu-assembly/repos/ROCm__aiter/hsa/gfx942/fmoe_2stages/fmoe_stage1_bf16_pertokenFp8_g1u1_80x256_pf3.co:	file format elf64-amdgpu

Disassembly of section .text:

0000000000002a00 <_ZN5aiter44fmoe_stage1_bf16_pertokenFp8_g1u1_80x256_pf3E>:
	s_and_b32 s1, s1, 0xffff                                   // 000000002A00: 8601FF01 0000FFFF
	s_load_dwordx2 s[8:9], s[0:1], 0x0                         // 000000002A08: C0060200 00000000
	s_load_dwordx2 s[20:21], s[0:1], 0x10                      // 000000002A10: C0060500 00000010
	s_load_dwordx2 s[24:25], s[0:1], 0x20                      // 000000002A18: C0060600 00000020
	s_load_dwordx2 s[48:49], s[0:1], 0x30                      // 000000002A20: C0060C00 00000030
	s_load_dwordx2 s[28:29], s[0:1], 0x40                      // 000000002A28: C0060700 00000040
	s_load_dwordx2 s[32:33], s[0:1], 0x50                      // 000000002A30: C0060800 00000050
	s_load_dwordx2 s[36:37], s[0:1], 0x60                      // 000000002A38: C0060900 00000060
	s_load_dwordx2 s[12:13], s[0:1], 0x70                      // 000000002A40: C0060300 00000070
	s_load_dwordx2 s[44:45], s[0:1], 0x80                      // 000000002A48: C0060B00 00000080
	s_mov_b32 s89, 0                                           // 000000002A50: BED90080
	s_load_dword s64, s[0:1], 0x90                             // 000000002A54: C0021000 00000090
	s_load_dword s65, s[0:1], 0xa0                             // 000000002A5C: C0021040 000000A0
	s_load_dword s66, s[0:1], 0xb0                             // 000000002A64: C0021080 000000B0
	s_load_dword s67, s[0:1], 0xc0                             // 000000002A6C: C00210C0 000000C0
	s_load_dword s68, s[0:1], 0xd0                             // 000000002A74: C0021100 000000D0
	s_load_dword s69, s[0:1], 0xe0                             // 000000002A7C: C0021140 000000E0
	s_load_dword s71, s[0:1], 0xf0                             // 000000002A84: C00211C0 000000F0
	s_load_dword s72, s[0:1], 0x100                            // 000000002A8C: C0021200 00000100
	s_load_dword s74, s[0:1], 0x110                            // 000000002A94: C0021280 00000110
	s_load_dword s76, s[0:1], 0x120                            // 000000002A9C: C0021300 00000120
	s_load_dword s56, s[0:1], 0x130                            // 000000002AA4: C0020E00 00000130
	s_load_dword s88, s[0:1], 0x140                            // 000000002AAC: C0021600 00000140
	s_load_dword s89, s[0:1], 0x150                            // 000000002AB4: C0021640 00000150
	v_lshrrev_b32_e32 v1, 10, v0                               // 000000002ABC: 2002008A
	v_lshrrev_b32_e32 v2, 10, v1                               // 000000002AC0: 2004028A
	v_and_b32_e32 v2, 0x3ff, v2                                // 000000002AC4: 260404FF 000003FF
	v_and_b32_e32 v1, 0x3ff, v1                                // 000000002ACC: 260202FF 000003FF
	v_and_b32_e32 v0, 0x3ff, v0                                // 000000002AD4: 260000FF 000003FF
	v_lshrrev_b32_e32 v3, 6, v0                                // 000000002ADC: 20060086
	v_and_b32_e32 v0, 63, v0                                   // 000000002AE0: 260000BF
	s_mov_b32 s2, s2                                           // 000000002AE4: BE820002
	s_mov_b32 s3, s3                                           // 000000002AE8: BE830003
	s_mov_b32 s4, s4                                           // 000000002AEC: BE840004
	v_readfirstlane_b32 s7, v3                                 // 000000002AF0: 7E0E0503
	s_waitcnt lgkmcnt(0)                                       // 000000002AF4: BF8CC07F
	s_and_b32 s49, s49, 0xffff                                 // 000000002AF8: 8631FF31 0000FFFF
	s_load_dword s48, s[48:49], 0x0                            // 000000002B00: C0020C18 00000000
	s_and_b32 s45, s45, 0xffff                                 // 000000002B08: 862DFF2D 0000FFFF
	s_and_b32 s9, s9, 0xffff                                   // 000000002B10: 8609FF09 0000FFFF
	s_mul_i32 s60, s66, s68                                    // 000000002B18: 923C4442
	s_mul_i32 s61, s66, 4                                      // 000000002B1C: 923D8442
	s_mov_b32 s22, s60                                         // 000000002B20: BE96003C
	s_mov_b32 s26, -16                                         // 000000002B24: BE9A00D0
	s_mov_b32 s30, s61                                         // 000000002B28: BE9E003D
	s_mov_b32 s14, 0x140                                       // 000000002B2C: BE8E00FF 00000140
	s_mov_b32 s38, -16                                         // 000000002B34: BEA600D0
	s_mov_b32 s10, -16                                         // 000000002B38: BE8A00D0
	s_mov_b32 s34, 0x400                                       // 000000002B3C: BEA200FF 00000400
	s_mov_b32 s23, 0x20000                                     // 000000002B44: BE9700FF 00020000
	s_mov_b32 s27, 0x20000                                     // 000000002B4C: BE9B00FF 00020000
	s_mov_b32 s31, 0x20000                                     // 000000002B54: BE9F00FF 00020000
	s_mov_b32 s35, 0x20000                                     // 000000002B5C: BEA300FF 00020000
	s_mov_b32 s15, 0x20000                                     // 000000002B64: BE8F00FF 00020000
	s_mov_b32 s39, 0x20000                                     // 000000002B6C: BEA700FF 00020000
	s_mov_b32 s11, 0x20000                                     // 000000002B74: BE8B00FF 00020000
	s_and_b32 s21, s21, 0xffff                                 // 000000002B7C: 8615FF15 0000FFFF
	s_and_b32 s25, s25, 0xffff                                 // 000000002B84: 8619FF19 0000FFFF
	s_and_b32 s29, s29, 0xffff                                 // 000000002B8C: 861DFF1D 0000FFFF
	s_and_b32 s33, s33, 0xffff                                 // 000000002B94: 8621FF21 0000FFFF
	s_and_b32 s13, s13, 0xffff                                 // 000000002B9C: 860DFF0D 0000FFFF
	s_and_b32 s37, s37, 0xffff                                 // 000000002BA4: 8625FF25 0000FFFF
	s_or_b32 s21, s21, 0x40000                                 // 000000002BAC: 8715FF15 00040000
	s_or_b32 s25, s25, 0x40000                                 // 000000002BB4: 8719FF19 00040000
	s_or_b32 s29, s29, 0x40000                                 // 000000002BBC: 871DFF1D 00040000
	s_or_b32 s33, s33, 0x40000                                 // 000000002BC4: 8721FF21 00040000
	s_or_b32 s13, s13, 0x40000                                 // 000000002BCC: 870DFF0D 00040000
	s_or_b32 s37, s37, 0x40000                                 // 000000002BD4: 8725FF25 00040000
	v_accvgpr_write_b32 a175, 0                                // 000000002BDC: D3D940AF 18000080
	v_mov_b32_e32 v223, 0                                      // 000000002BE4: 7FBE0280
	s_waitcnt lgkmcnt(0)                                       // 000000002BE8: BF8CC07F
	s_mul_i32 s60, s3, 0x50                                    // 000000002BEC: 923CFF03 00000050
	s_cmp_lt_i32 s60, s48                                      // 000000002BF4: BF04303C
	s_cbranch_scc0 label_3D10                                  // 000000002BF8: BF843C8E
	s_mov_b32 s80, 0                                           // 000000002BFC: BED00080
	s_lshr_b32 s81, s64, s88                                   // 000000002C00: 8F515840
	s_mul_i32 s60, s3, 4                                       // 000000002C04: 923C8403
	s_add_u32 s44, s60, s44                                    // 000000002C08: 802C2C3C
	s_addc_u32 s45, 0, s45                                     // 000000002C0C: 822D2D80
	s_load_dword s5, s[44:45], 0x0                             // 000000002C10: C0020156 00000000
	s_mul_i32 s60, s3, 0x50                                    // 000000002C18: 923CFF03 00000050
	s_mul_i32 s60, 4, s60                                      // 000000002C20: 923C3C84
	s_add_u32 s12, s60, s12                                    // 000000002C24: 800C0C3C
	s_addc_u32 s13, 0, s13                                     // 000000002C28: 820D0D80
	v_and_b32_e32 v4, 15, v0                                   // 000000002C2C: 2608008F
	v_lshlrev_b32_e32 v4, 2, v4                                // 000000002C30: 24080882
	buffer_load_dword v30, v4, s[12:15], 0 offen               // 000000002C34: E0501000 80031E04
	v_add_u32_e32 v4, 64, v4                                   // 000000002C3C: 680808C0
	buffer_load_dword v31, v4, s[12:15], 0 offen               // 000000002C40: E0501000 80031F04
	v_add_u32_e32 v4, 64, v4                                   // 000000002C48: 680808C0
	buffer_load_dword v32, v4, s[12:15], 0 offen               // 000000002C4C: E0501000 80032004
	v_add_u32_e32 v4, 64, v4                                   // 000000002C54: 680808C0
	buffer_load_dword v33, v4, s[12:15], 0 offen               // 000000002C58: E0501000 80032104
	v_add_u32_e32 v4, 64, v4                                   // 000000002C60: 680808C0
	buffer_load_dword v34, v4, s[12:15], 0 offen               // 000000002C64: E0501000 80032204
	v_add_u32_e32 v4, 64, v4                                   // 000000002C6C: 680808C0
	s_mul_i32 s60, 4, s7                                       // 000000002C70: 923C0784
	v_lshlrev_b32_e32 v4, 4, v0                                // 000000002C74: 24080084
	v_add_u32_e32 v4, s60, v4                                  // 000000002C78: 6808083C
	buffer_load_dword v3, v4, s[12:15], 0 offen                // 000000002C7C: E0501000 80030304
	v_mov_b32_e32 v64, 0                                       // 000000002C84: 7E800280
	v_mov_b32_e32 v144, 0                                      // 000000002C88: 7F200280
	v_mov_b32_e32 v65, 0                                       // 000000002C8C: 7E820280
	v_mov_b32_e32 v145, 0                                      // 000000002C90: 7F220280
	v_mov_b32_e32 v66, 0                                       // 000000002C94: 7E840280
	v_mov_b32_e32 v146, 0                                      // 000000002C98: 7F240280
	v_mov_b32_e32 v67, 0                                       // 000000002C9C: 7E860280
	v_mov_b32_e32 v147, 0                                      // 000000002CA0: 7F260280
	v_mov_b32_e32 v68, 0                                       // 000000002CA4: 7E880280
	v_mov_b32_e32 v148, 0                                      // 000000002CA8: 7F280280
	v_mov_b32_e32 v69, 0                                       // 000000002CAC: 7E8A0280
	v_mov_b32_e32 v149, 0                                      // 000000002CB0: 7F2A0280
	v_mov_b32_e32 v70, 0                                       // 000000002CB4: 7E8C0280
	v_mov_b32_e32 v150, 0                                      // 000000002CB8: 7F2C0280
	v_mov_b32_e32 v71, 0                                       // 000000002CBC: 7E8E0280
	v_mov_b32_e32 v151, 0                                      // 000000002CC0: 7F2E0280
	v_mov_b32_e32 v72, 0                                       // 000000002CC4: 7E900280
	v_mov_b32_e32 v152, 0                                      // 000000002CC8: 7F300280
	v_mov_b32_e32 v73, 0                                       // 000000002CCC: 7E920280
	v_mov_b32_e32 v153, 0                                      // 000000002CD0: 7F320280
	v_mov_b32_e32 v74, 0                                       // 000000002CD4: 7E940280
	v_mov_b32_e32 v154, 0                                      // 000000002CD8: 7F340280
	v_mov_b32_e32 v75, 0                                       // 000000002CDC: 7E960280
	v_mov_b32_e32 v155, 0                                      // 000000002CE0: 7F360280
	v_mov_b32_e32 v76, 0                                       // 000000002CE4: 7E980280
	v_mov_b32_e32 v156, 0                                      // 000000002CE8: 7F380280
	v_mov_b32_e32 v77, 0                                       // 000000002CEC: 7E9A0280
	v_mov_b32_e32 v157, 0                                      // 000000002CF0: 7F3A0280
	v_mov_b32_e32 v78, 0                                       // 000000002CF4: 7E9C0280
	v_mov_b32_e32 v158, 0                                      // 000000002CF8: 7F3C0280
	v_mov_b32_e32 v79, 0                                       // 000000002CFC: 7E9E0280
	v_mov_b32_e32 v159, 0                                      // 000000002D00: 7F3E0280
	v_mov_b32_e32 v80, 0                                       // 000000002D04: 7EA00280
	v_mov_b32_e32 v160, 0                                      // 000000002D08: 7F400280
	v_mov_b32_e32 v81, 0                                       // 000000002D0C: 7EA20280
	v_mov_b32_e32 v161, 0                                      // 000000002D10: 7F420280
	v_mov_b32_e32 v82, 0                                       // 000000002D14: 7EA40280
	v_mov_b32_e32 v162, 0                                      // 000000002D18: 7F440280
	v_mov_b32_e32 v83, 0                                       // 000000002D1C: 7EA60280
	v_mov_b32_e32 v163, 0                                      // 000000002D20: 7F460280
	v_mov_b32_e32 v84, 0                                       // 000000002D24: 7EA80280
	v_mov_b32_e32 v164, 0                                      // 000000002D28: 7F480280
	v_mov_b32_e32 v85, 0                                       // 000000002D2C: 7EAA0280
	v_mov_b32_e32 v165, 0                                      // 000000002D30: 7F4A0280
	v_mov_b32_e32 v86, 0                                       // 000000002D34: 7EAC0280
	v_mov_b32_e32 v166, 0                                      // 000000002D38: 7F4C0280
	v_mov_b32_e32 v87, 0                                       // 000000002D3C: 7EAE0280
	v_mov_b32_e32 v167, 0                                      // 000000002D40: 7F4E0280
	v_mov_b32_e32 v88, 0                                       // 000000002D44: 7EB00280
	v_mov_b32_e32 v168, 0                                      // 000000002D48: 7F500280
	v_mov_b32_e32 v89, 0                                       // 000000002D4C: 7EB20280
	v_mov_b32_e32 v169, 0                                      // 000000002D50: 7F520280
	v_mov_b32_e32 v90, 0                                       // 000000002D54: 7EB40280
	v_mov_b32_e32 v170, 0                                      // 000000002D58: 7F540280
	v_mov_b32_e32 v91, 0                                       // 000000002D5C: 7EB60280
	v_mov_b32_e32 v171, 0                                      // 000000002D60: 7F560280
	v_mov_b32_e32 v92, 0                                       // 000000002D64: 7EB80280
	v_mov_b32_e32 v172, 0                                      // 000000002D68: 7F580280
	v_mov_b32_e32 v93, 0                                       // 000000002D6C: 7EBA0280
	v_mov_b32_e32 v173, 0                                      // 000000002D70: 7F5A0280
	v_mov_b32_e32 v94, 0                                       // 000000002D74: 7EBC0280
	v_mov_b32_e32 v174, 0                                      // 000000002D78: 7F5C0280
	v_mov_b32_e32 v95, 0                                       // 000000002D7C: 7EBE0280
	v_mov_b32_e32 v175, 0                                      // 000000002D80: 7F5E0280
	v_mov_b32_e32 v96, 0                                       // 000000002D84: 7EC00280
	v_mov_b32_e32 v176, 0                                      // 000000002D88: 7F600280
	v_mov_b32_e32 v97, 0                                       // 000000002D8C: 7EC20280
	v_mov_b32_e32 v177, 0                                      // 000000002D90: 7F620280
	v_mov_b32_e32 v98, 0                                       // 000000002D94: 7EC40280
	v_mov_b32_e32 v178, 0                                      // 000000002D98: 7F640280
	v_mov_b32_e32 v99, 0                                       // 000000002D9C: 7EC60280
	v_mov_b32_e32 v179, 0                                      // 000000002DA0: 7F660280
	v_mov_b32_e32 v100, 0                                      // 000000002DA4: 7EC80280
	v_mov_b32_e32 v180, 0                                      // 000000002DA8: 7F680280
	v_mov_b32_e32 v101, 0                                      // 000000002DAC: 7ECA0280
	v_mov_b32_e32 v181, 0                                      // 000000002DB0: 7F6A0280
	v_mov_b32_e32 v102, 0                                      // 000000002DB4: 7ECC0280
	v_mov_b32_e32 v182, 0                                      // 000000002DB8: 7F6C0280
	v_mov_b32_e32 v103, 0                                      // 000000002DBC: 7ECE0280
	v_mov_b32_e32 v183, 0                                      // 000000002DC0: 7F6E0280
	v_mov_b32_e32 v104, 0                                      // 000000002DC4: 7ED00280
	v_mov_b32_e32 v184, 0                                      // 000000002DC8: 7F700280
	v_mov_b32_e32 v105, 0                                      // 000000002DCC: 7ED20280
	v_mov_b32_e32 v185, 0                                      // 000000002DD0: 7F720280
	v_mov_b32_e32 v106, 0                                      // 000000002DD4: 7ED40280
	v_mov_b32_e32 v186, 0                                      // 000000002DD8: 7F740280
	v_mov_b32_e32 v107, 0                                      // 000000002DDC: 7ED60280
	v_mov_b32_e32 v187, 0                                      // 000000002DE0: 7F760280
	v_mov_b32_e32 v108, 0                                      // 000000002DE4: 7ED80280
	v_mov_b32_e32 v188, 0                                      // 000000002DE8: 7F780280
	v_mov_b32_e32 v109, 0                                      // 000000002DEC: 7EDA0280
	v_mov_b32_e32 v189, 0                                      // 000000002DF0: 7F7A0280
	v_mov_b32_e32 v110, 0                                      // 000000002DF4: 7EDC0280
	v_mov_b32_e32 v190, 0                                      // 000000002DF8: 7F7C0280
	v_mov_b32_e32 v111, 0                                      // 000000002DFC: 7EDE0280
	v_mov_b32_e32 v191, 0                                      // 000000002E00: 7F7E0280
	v_mov_b32_e32 v112, 0                                      // 000000002E04: 7EE00280
	v_mov_b32_e32 v192, 0                                      // 000000002E08: 7F800280
	v_mov_b32_e32 v113, 0                                      // 000000002E0C: 7EE20280
	v_mov_b32_e32 v193, 0                                      // 000000002E10: 7F820280
	v_mov_b32_e32 v114, 0                                      // 000000002E14: 7EE40280
	v_mov_b32_e32 v194, 0                                      // 000000002E18: 7F840280
	v_mov_b32_e32 v115, 0                                      // 000000002E1C: 7EE60280
	v_mov_b32_e32 v195, 0                                      // 000000002E20: 7F860280
	v_mov_b32_e32 v116, 0                                      // 000000002E24: 7EE80280
	v_mov_b32_e32 v196, 0                                      // 000000002E28: 7F880280
	v_mov_b32_e32 v117, 0                                      // 000000002E2C: 7EEA0280
	v_mov_b32_e32 v197, 0                                      // 000000002E30: 7F8A0280
	v_mov_b32_e32 v118, 0                                      // 000000002E34: 7EEC0280
	v_mov_b32_e32 v198, 0                                      // 000000002E38: 7F8C0280
	v_mov_b32_e32 v119, 0                                      // 000000002E3C: 7EEE0280
	v_mov_b32_e32 v199, 0                                      // 000000002E40: 7F8E0280
	v_mov_b32_e32 v120, 0                                      // 000000002E44: 7EF00280
	v_mov_b32_e32 v200, 0                                      // 000000002E48: 7F900280
	v_mov_b32_e32 v121, 0                                      // 000000002E4C: 7EF20280
	v_mov_b32_e32 v201, 0                                      // 000000002E50: 7F920280
	v_mov_b32_e32 v122, 0                                      // 000000002E54: 7EF40280
	v_mov_b32_e32 v202, 0                                      // 000000002E58: 7F940280
	v_mov_b32_e32 v123, 0                                      // 000000002E5C: 7EF60280
	v_mov_b32_e32 v203, 0                                      // 000000002E60: 7F960280
	v_mov_b32_e32 v124, 0                                      // 000000002E64: 7EF80280
	v_mov_b32_e32 v204, 0                                      // 000000002E68: 7F980280
	v_mov_b32_e32 v125, 0                                      // 000000002E6C: 7EFA0280
	v_mov_b32_e32 v205, 0                                      // 000000002E70: 7F9A0280
	v_mov_b32_e32 v126, 0                                      // 000000002E74: 7EFC0280
	v_mov_b32_e32 v206, 0                                      // 000000002E78: 7F9C0280
	v_mov_b32_e32 v127, 0                                      // 000000002E7C: 7EFE0280
	v_mov_b32_e32 v207, 0                                      // 000000002E80: 7F9E0280
	v_mov_b32_e32 v128, 0                                      // 000000002E84: 7F000280
	v_mov_b32_e32 v208, 0                                      // 000000002E88: 7FA00280
	v_mov_b32_e32 v129, 0                                      // 000000002E8C: 7F020280
	v_mov_b32_e32 v209, 0                                      // 000000002E90: 7FA20280
	v_mov_b32_e32 v130, 0                                      // 000000002E94: 7F040280
	v_mov_b32_e32 v210, 0                                      // 000000002E98: 7FA40280
	v_mov_b32_e32 v131, 0                                      // 000000002E9C: 7F060280
	v_mov_b32_e32 v211, 0                                      // 000000002EA0: 7FA60280
	v_mov_b32_e32 v132, 0                                      // 000000002EA4: 7F080280
	v_mov_b32_e32 v212, 0                                      // 000000002EA8: 7FA80280
	v_mov_b32_e32 v133, 0                                      // 000000002EAC: 7F0A0280
	v_mov_b32_e32 v213, 0                                      // 000000002EB0: 7FAA0280
	v_mov_b32_e32 v134, 0                                      // 000000002EB4: 7F0C0280
	v_mov_b32_e32 v214, 0                                      // 000000002EB8: 7FAC0280
	v_mov_b32_e32 v135, 0                                      // 000000002EBC: 7F0E0280
	v_mov_b32_e32 v215, 0                                      // 000000002EC0: 7FAE0280
	v_mov_b32_e32 v136, 0                                      // 000000002EC4: 7F100280
	v_mov_b32_e32 v216, 0                                      // 000000002EC8: 7FB00280
	v_mov_b32_e32 v137, 0                                      // 000000002ECC: 7F120280
	v_mov_b32_e32 v217, 0                                      // 000000002ED0: 7FB20280
	v_mov_b32_e32 v138, 0                                      // 000000002ED4: 7F140280
	v_mov_b32_e32 v218, 0                                      // 000000002ED8: 7FB40280
	v_mov_b32_e32 v139, 0                                      // 000000002EDC: 7F160280
	v_mov_b32_e32 v219, 0                                      // 000000002EE0: 7FB60280
	v_mov_b32_e32 v140, 0                                      // 000000002EE4: 7F180280
	v_mov_b32_e32 v220, 0                                      // 000000002EE8: 7FB80280
	v_mov_b32_e32 v141, 0                                      // 000000002EEC: 7F1A0280
	v_mov_b32_e32 v221, 0                                      // 000000002EF0: 7FBA0280
	v_mov_b32_e32 v142, 0                                      // 000000002EF4: 7F1C0280
	v_mov_b32_e32 v222, 0                                      // 000000002EF8: 7FBC0280
	v_mov_b32_e32 v143, 0                                      // 000000002EFC: 7F1E0280
	v_mov_b32_e32 v223, 0                                      // 000000002F00: 7FBE0280
	s_mul_i32 s60, s2, 0x200                                   // 000000002F04: 923CFF02 00000200
	s_cmp_eq_u32 s88, 0                                        // 000000002F0C: BF068058
	s_cselect_b32 s61, 1, 2                                    // 000000002F10: 853D8281
	s_mul_i32 s60, s60, s61                                    // 000000002F14: 923C3D3C
	s_mov_b32 s90, s8                                          // 000000002F18: BEDA0008
	s_mov_b32 s91, s9                                          // 000000002F1C: BEDB0009
	s_add_u32 s8, s60, s8                                      // 000000002F20: 8008083C
	s_addc_u32 s9, 0, s9                                       // 000000002F24: 82090980
	v_lshrrev_b32_e32 v4, 4, v0                                // 000000002F28: 20080084
	v_mul_lo_u32 v20, 34, v4                                   // 000000002F2C: D2850014 000208A2
	v_and_b32_e32 v4, 15, v0                                   // 000000002F34: 2608008F
	v_mul_lo_u32 v5, 2, v4                                     // 000000002F38: D2850005 00020882
	v_add_u32_e32 v20, v5, v20                                 // 000000002F40: 68282905
	s_mul_i32 s60, s7, 0x88                                    // 000000002F44: 923CFF07 00000088
	v_add_u32_e32 v20, s60, v20                                // 000000002F4C: 6828283C
	v_lshlrev_b32_e32 v20, 2, v20                              // 000000002F50: 24282882
	v_and_b32_e32 v4, 31, v0                                   // 000000002F54: 2608009F
	v_lshrrev_b32_e32 v4, 1, v4                                // 000000002F58: 20080881
	v_mul_lo_u32 v21, 34, v4                                   // 000000002F5C: D2850015 000208A2
	v_lshrrev_b32_e32 v4, 5, v0                                // 000000002F64: 20080085
	v_mul_lo_u32 v4, 8, v4                                     // 000000002F68: D2850004 00020888
	v_add_u32_e32 v21, v21, v4                                 // 000000002F70: 682A0915
	v_and_b32_e32 v5, 1, v0                                    // 000000002F74: 260A0081
	v_add_u32_e32 v21, v5, v21                                 // 000000002F78: 682A2B05
	s_mul_i32 s60, s7, 2                                       // 000000002F7C: 923C8207
	v_add_u32_e32 v21, s60, v21                                // 000000002F80: 682A2A3C
	v_lshlrev_b32_e32 v21, 2, v21                              // 000000002F84: 242A2A82
	s_mul_i32 s60, s7, 0xa20                                   // 000000002F88: 923CFF07 00000A20
	s_add_u32 s48, 0, s60                                      // 000000002F90: 80303C80
	s_add_u32 s49, 0x2880, s48                                 // 000000002F94: 803130FF 00002880
	s_add_u32 s50, 0x2880, s49                                 // 000000002F9C: 803231FF 00002880
	v_lshrrev_b32_e32 v4, 4, v0                                // 000000002FA4: 20080084
	v_lshlrev_b32_e32 v5, 2, v4                                // 000000002FA8: 240A0882
	v_and_b32_e32 v4, 15, v0                                   // 000000002FAC: 2608008F
	v_lshrrev_b32_e32 v6, 2, v4                                // 000000002FB0: 200C0882
	v_lshlrev_b32_e32 v6, 5, v6                                // 000000002FB4: 240C0C85
	v_add_u32_e32 v5, v6, v5                                   // 000000002FB8: 680A0B06
	v_and_b32_e32 v4, 3, v0                                    // 000000002FBC: 26080083
	v_mul_u32_u24_e32 v6, 0x288, v4                            // 000000002FC0: 100C08FF 00000288
	v_add_u32_e32 v5, v6, v5                                   // 000000002FC8: 680A0B06
	v_lshlrev_b32_e32 v2, 2, v5                                // 000000002FCC: 24040A82
	s_waitcnt lgkmcnt(0)                                       // 000000002FD0: BF8CC07F
	s_mul_i32 s60, s2, 0x100                                   // 000000002FD4: 923CFF02 00000100
	s_mul_i32 s60, s60, s69                                    // 000000002FDC: 923C453C
	s_mul_i32 s61, s5, s72                                     // 000000002FE0: 923D4805
	s_add_u32 s60, s61, s60                                    // 000000002FE4: 803C3C3D
	s_add_u32 s24, s60, s24                                    // 000000002FE8: 8018183C
	s_addc_u32 s25, 0, s25                                     // 000000002FEC: 82191980
	s_lshr_b32 s60, s64, s88                                   // 000000002FF0: 8F3C5840
	s_mul_i32 s60, s4, s60                                     // 000000002FF4: 923C3C04
	s_lshr_b32 s60, s60, 7                                     // 000000002FF8: 8F3C873C
	s_mul_i32 s60, s60, 0x800                                  // 000000002FFC: 923CFF3C 00000800
	s_add_u32 s24, s60, s24                                    // 000000003004: 8018183C
	s_addc_u32 s25, 0, s25                                     // 000000003008: 82191980
	s_lshr_b32 s60, s69, s88                                   // 00000000300C: 8F3C5845
	s_mul_i32 s60, s4, s60                                     // 000000003010: 923C3C04
	s_add_u32 s20, s60, s20                                    // 000000003014: 8014143C
	s_addc_u32 s21, 0, s21                                     // 000000003018: 82151580
	s_mul_i32 s60, s7, 16                                      // 00000000301C: 923C9007
	s_mul_i32 s60, s60, s69                                    // 000000003020: 923C453C
	v_lshlrev_b32_e32 v60, 4, v0                               // 000000003024: 24780084
	v_add_u32_e32 v60, s60, v60                                // 000000003028: 6878783C
	s_mul_i32 s60, 64, s69                                     // 00000000302C: 923C45C0
	v_add_u32_e32 v61, s60, v60                                // 000000003030: 687A783C
	v_add_u32_e32 v62, s60, v61                                // 000000003034: 687C7A3C
	v_add_u32_e32 v63, s60, v62                                // 000000003038: 687E7C3C
	s_mov_b32 s84, s24                                         // 00000000303C: BED40018
	s_mov_b32 s85, s25                                         // 000000003040: BED50019
	s_mov_b32 s86, s26                                         // 000000003044: BED6001A
	s_mov_b32 s87, s27                                         // 000000003048: BED7001B
	s_mul_i32 s60, s69, s65                                    // 00000000304C: 923C4145
	s_add_u32 s84, s60, s84                                    // 000000003050: 8054543C
	s_addc_u32 s85, 0, s85                                     // 000000003054: 82555580
	v_lshrrev_b32_e32 v4, 4, v0                                // 000000003058: 20080084
	v_lshlrev_b32_e32 v5, 2, v4                                // 00000000305C: 240A0882
	v_and_b32_e32 v4, 15, v0                                   // 000000003060: 2608008F
	v_lshrrev_b32_e32 v6, 2, v4                                // 000000003064: 200C0882
	v_lshlrev_b32_e32 v6, 6, v6                                // 000000003068: 240C0C86
	v_add_u32_e32 v5, v6, v5                                   // 00000000306C: 680A0B06
	v_and_b32_e32 v4, 3, v0                                    // 000000003070: 26080083
	v_add_u32_e32 v5, v4, v5                                   // 000000003074: 680A0B04
	v_lshlrev_b32_e32 v22, 2, v5                               // 000000003078: 242C0A82
	s_mul_i32 s60, s7, 16                                      // 00000000307C: 923C9007
	s_mul_i32 s60, s60, 4                                      // 000000003080: 923C843C
	v_add_u32_e32 v22, s60, v22                                // 000000003084: 682C2C3C
	s_mul_i32 s60, s2, 0x100                                   // 000000003088: 923CFF02 00000100
	s_mul_i32 s60, s60, 4                                      // 000000003090: 923C843C
	s_mul_i32 s61, s5, s74                                     // 000000003094: 923D4A05
	s_add_u32 s61, s61, s60                                    // 000000003098: 803D3C3D
	s_add_u32 s32, s61, s32                                    // 00000000309C: 8020203D
	s_addc_u32 s33, 0, s33                                     // 0000000030A0: 82212180
	s_mov_b32 s57, 0x80                                        // 0000000030A4: BEB900FF 00000080
	s_mov_b32 s58, 0x800                                       // 0000000030AC: BEBA00FF 00000800
	s_mov_b32 s83, s58                                         // 0000000030B4: BED3003A
	s_mov_b32 s52, 0x7060302                                   // 0000000030B8: BEB400FF 07060302
	s_mov_b32 s53, 0x400                                       // 0000000030C0: BEB500FF 00000400
	s_mov_b32 s54, 0x40100                                     // 0000000030C8: BEB600FF 00040100
	s_mov_b32 s55, 0x4020100                                   // 0000000030D0: BEB700FF 04020100
	s_mov_b32 s6, 0x3fb8aa3b                                   // 0000000030D8: BE8600FF 3FB8AA3B
	s_mov_b32 s78, 0xbd92220c                                  // 0000000030E0: BECE00FF BD92220C
	s_mov_b32 s79, 0xbd92220c                                  // 0000000030E8: BECF00FF BD92220C
	s_mov_b32 m0, s48                                          // 0000000030F0: BEFC0030
	v_mov_b32_e32 v1, 0xbfcc4231                               // 0000000030F4: 7E0202FF BFCC4231
	v_mov_b32_e32 v17, 0xffff0000                              // 0000000030FC: 7E2202FF FFFF0000
	v_mov_b32_e32 v18, 0x7fff0000                              // 000000003104: 7E2402FF 7FFF0000
	v_mov_b32_e32 v19, 0x7fff                                  // 00000000310C: 7E2602FF 00007FFF
	s_waitcnt vmcnt(0) expcnt(0) lgkmcnt(0)                    // 000000003114: BF8C0000
	v_lshrrev_b32_e32 v4, 5, v0                                // 000000003118: 20080085
	v_xor_b32_e32 v5, 1, v4                                    // 00000000311C: 2A0A0881
	v_readlane_b32 s82, v3, 0                                  // 000000003120: D2890052 00010103
	s_and_b32 s82, s82, 0xffffff                               // 000000003128: 8652FF52 00FFFFFF
	v_mul_lo_u32 v6, v5, s82                                   // 000000003130: D2850006 0000A505
	v_readlane_b32 s82, v3, 1                                  // 000000003138: D2890052 00010303
	s_and_b32 s82, s82, 0xffffff                               // 000000003140: 8652FF52 00FFFFFF
	v_mul_lo_u32 v7, v4, s82                                   // 000000003148: D2850007 0000A504
	v_add_u32_e32 v50, v6, v7                                  // 000000003150: 68640F06
	v_mul_lo_u32 v50, v50, s68                                 // 000000003154: D2850032 00008932
	v_readlane_b32 s82, v3, 2                                  // 00000000315C: D2890052 00010503
	s_and_b32 s82, s82, 0xffffff                               // 000000003164: 8652FF52 00FFFFFF
	v_mul_lo_u32 v6, v5, s82                                   // 00000000316C: D2850006 0000A505
	v_readlane_b32 s82, v3, 3                                  // 000000003174: D2890052 00010703
	s_and_b32 s82, s82, 0xffffff                               // 00000000317C: 8652FF52 00FFFFFF
	v_mul_lo_u32 v7, v4, s82                                   // 000000003184: D2850007 0000A504
	v_add_u32_e32 v51, v6, v7                                  // 00000000318C: 68660F06
	v_mul_lo_u32 v51, v51, s68                                 // 000000003190: D2850033 00008933
	v_readlane_b32 s82, v3, 4                                  // 000000003198: D2890052 00010903
	s_and_b32 s82, s82, 0xffffff                               // 0000000031A0: 8652FF52 00FFFFFF
	v_mul_lo_u32 v6, v5, s82                                   // 0000000031A8: D2850006 0000A505
	v_readlane_b32 s82, v3, 5                                  // 0000000031B0: D2890052 00010B03
	s_and_b32 s82, s82, 0xffffff                               // 0000000031B8: 8652FF52 00FFFFFF
	v_mul_lo_u32 v7, v4, s82                                   // 0000000031C0: D2850007 0000A504
	v_add_u32_e32 v52, v6, v7                                  // 0000000031C8: 68680F06
	v_mul_lo_u32 v52, v52, s68                                 // 0000000031CC: D2850034 00008934
	v_readlane_b32 s82, v3, 6                                  // 0000000031D4: D2890052 00010D03
	s_and_b32 s82, s82, 0xffffff                               // 0000000031DC: 8652FF52 00FFFFFF
	v_mul_lo_u32 v6, v5, s82                                   // 0000000031E4: D2850006 0000A505
	v_readlane_b32 s82, v3, 7                                  // 0000000031EC: D2890052 00010F03
	s_and_b32 s82, s82, 0xffffff                               // 0000000031F4: 8652FF52 00FFFFFF
	v_mul_lo_u32 v7, v4, s82                                   // 0000000031FC: D2850007 0000A504
	v_add_u32_e32 v53, v6, v7                                  // 000000003204: 686A0F06
	v_mul_lo_u32 v53, v53, s68                                 // 000000003208: D2850035 00008935
	v_readlane_b32 s82, v3, 8                                  // 000000003210: D2890052 00011103
	s_and_b32 s82, s82, 0xffffff                               // 000000003218: 8652FF52 00FFFFFF
	v_mul_lo_u32 v6, v5, s82                                   // 000000003220: D2850006 0000A505
	v_readlane_b32 s82, v3, 9                                  // 000000003228: D2890052 00011303
	s_and_b32 s82, s82, 0xffffff                               // 000000003230: 8652FF52 00FFFFFF
	v_mul_lo_u32 v7, v4, s82                                   // 000000003238: D2850007 0000A504
	v_add_u32_e32 v54, v6, v7                                  // 000000003240: 686C0F06
	v_mul_lo_u32 v54, v54, s68                                 // 000000003244: D2850036 00008936
	v_readlane_b32 s82, v3, 10                                 // 00000000324C: D2890052 00011503
	s_and_b32 s82, s82, 0xffffff                               // 000000003254: 8652FF52 00FFFFFF
	v_mul_lo_u32 v6, v5, s82                                   // 00000000325C: D2850006 0000A505
	v_readlane_b32 s82, v3, 11                                 // 000000003264: D2890052 00011703
	s_and_b32 s82, s82, 0xffffff                               // 00000000326C: 8652FF52 00FFFFFF
	v_mul_lo_u32 v7, v4, s82                                   // 000000003274: D2850007 0000A504
	v_add_u32_e32 v55, v6, v7                                  // 00000000327C: 686E0F06
	v_mul_lo_u32 v55, v55, s68                                 // 000000003280: D2850037 00008937
	v_readlane_b32 s82, v3, 12                                 // 000000003288: D2890052 00011903
	s_and_b32 s82, s82, 0xffffff                               // 000000003290: 8652FF52 00FFFFFF
	v_mul_lo_u32 v6, v5, s82                                   // 000000003298: D2850006 0000A505
	v_readlane_b32 s82, v3, 13                                 // 0000000032A0: D2890052 00011B03
	s_and_b32 s82, s82, 0xffffff                               // 0000000032A8: 8652FF52 00FFFFFF
	v_mul_lo_u32 v7, v4, s82                                   // 0000000032B0: D2850007 0000A504
	v_add_u32_e32 v56, v6, v7                                  // 0000000032B8: 68700F06
	v_mul_lo_u32 v56, v56, s68                                 // 0000000032BC: D2850038 00008938
	v_readlane_b32 s82, v3, 14                                 // 0000000032C4: D2890052 00011D03
	s_and_b32 s82, s82, 0xffffff                               // 0000000032CC: 8652FF52 00FFFFFF
	v_mul_lo_u32 v6, v5, s82                                   // 0000000032D4: D2850006 0000A505
	v_readlane_b32 s82, v3, 15                                 // 0000000032DC: D2890052 00011F03
	s_and_b32 s82, s82, 0xffffff                               // 0000000032E4: 8652FF52 00FFFFFF
	v_mul_lo_u32 v7, v4, s82                                   // 0000000032EC: D2850007 0000A504
	v_add_u32_e32 v57, v6, v7                                  // 0000000032F4: 68720F06
	v_mul_lo_u32 v57, v57, s68                                 // 0000000032F8: D2850039 00008939
	v_readlane_b32 s82, v3, 16                                 // 000000003300: D2890052 00012103
	s_and_b32 s82, s82, 0xffffff                               // 000000003308: 8652FF52 00FFFFFF
	v_mul_lo_u32 v6, v5, s82                                   // 000000003310: D2850006 0000A505
	v_readlane_b32 s82, v3, 17                                 // 000000003318: D2890052 00012303
	s_and_b32 s82, s82, 0xffffff                               // 000000003320: 8652FF52 00FFFFFF
	v_mul_lo_u32 v7, v4, s82                                   // 000000003328: D2850007 0000A504
	v_add_u32_e32 v58, v6, v7                                  // 000000003330: 68740F06
	v_mul_lo_u32 v58, v58, s68                                 // 000000003334: D285003A 0000893A
	v_readlane_b32 s82, v3, 18                                 // 00000000333C: D2890052 00012503
	s_and_b32 s82, s82, 0xffffff                               // 000000003344: 8652FF52 00FFFFFF
	v_mul_lo_u32 v6, v5, s82                                   // 00000000334C: D2850006 0000A505
	v_readlane_b32 s82, v3, 19                                 // 000000003354: D2890052 00012703
	s_and_b32 s82, s82, 0xffffff                               // 00000000335C: 8652FF52 00FFFFFF
	v_mul_lo_u32 v7, v4, s82                                   // 000000003364: D2850007 0000A504
	v_add_u32_e32 v59, v6, v7                                  // 00000000336C: 68760F06
	v_mul_lo_u32 v59, v59, s68                                 // 000000003370: D285003B 0000893B
	v_and_b32_e32 v4, 31, v0                                   // 000000003378: 2608009F
	v_lshlrev_b32_e32 v4, 2, v4                                // 00000000337C: 24080882
	v_add_u32_e32 v50, v50, v4                                 // 000000003380: 68640932
	v_add_u32_e32 v51, v51, v4                                 // 000000003384: 68660933
	;; [unrolled: 1-line block ×3, first 2 shown]
	v_add_u32_e32 v53, v53, v4                                 // 00000000338C: 686A0935
	v_add_u32_e32 v54, v54, v4                                 // 000000003390: 686C0936
	v_add_u32_e32 v55, v55, v4                                 // 000000003394: 686E0937
	v_add_u32_e32 v56, v56, v4                                 // 000000003398: 68700938
	v_add_u32_e32 v57, v57, v4                                 // 00000000339C: 68720939
	v_add_u32_e32 v58, v58, v4                                 // 0000000033A0: 6874093A
	v_add_u32_e32 v59, v59, v4                                 // 0000000033A4: 6876093B
	v_and_b32_e32 v30, 0xffffff, v30                           // 0000000033A8: 263C3CFF 00FFFFFF
	v_lshlrev_b32_e32 v30, 2, v30                              // 0000000033B0: 243C3C82
	v_and_b32_e32 v31, 0xffffff, v31                           // 0000000033B4: 263E3EFF 00FFFFFF
	v_lshlrev_b32_e32 v31, 2, v31                              // 0000000033BC: 243E3E82
	v_and_b32_e32 v32, 0xffffff, v32                           // 0000000033C0: 264040FF 00FFFFFF
	v_lshlrev_b32_e32 v32, 2, v32                              // 0000000033C8: 24404082
	v_and_b32_e32 v33, 0xffffff, v33                           // 0000000033CC: 264242FF 00FFFFFF
	v_lshlrev_b32_e32 v33, 2, v33                              // 0000000033D4: 24424282
	v_and_b32_e32 v34, 0xffffff, v34                           // 0000000033D8: 264444FF 00FFFFFF
	v_lshlrev_b32_e32 v34, 2, v34                              // 0000000033E0: 24444482
	s_lshl_b32 s3, s66, 2                                      // 0000000033E4: 8E038242
	buffer_load_dword v35, v30, s[28:31], 0 offen              // 0000000033E8: E0501000 8007231E
	buffer_load_dword v36, v31, s[28:31], 0 offen              // 0000000033F0: E0501000 8007241F
	buffer_load_dword v37, v32, s[28:31], 0 offen              // 0000000033F8: E0501000 80072520
	buffer_load_dword v38, v33, s[28:31], 0 offen              // 000000003400: E0501000 80072621
	buffer_load_dword v39, v34, s[28:31], 0 offen              // 000000003408: E0501000 80072722
	buffer_load_dword v24, v22, s[32:35], 0 offen              // 000000003410: E0501000 80081816
	s_mul_i32 s60, 4, s65                                      // 000000003418: 923C4184
	s_add_u32 s32, s60, s32                                    // 00000000341C: 8020203C
	s_addc_u32 s33, 0, s33                                     // 000000003420: 82212180
	buffer_load_dword v27, v22, s[32:35], 0 offen              // 000000003424: E0501000 80081B16
	buffer_load_dword v50, s[20:23], 0 offen lds               // 00000000342C: E0511000 80050032
	s_add_u32 m0, 0x100, s48                                   // 000000003434: 807C30FF 00000100
	buffer_load_dword v51, s[20:23], 0 offen lds               // 00000000343C: E0511000 80050033
	s_add_u32 m0, 0x200, s48                                   // 000000003444: 807C30FF 00000200
	buffer_load_dword v52, s[20:23], 0 offen lds               // 00000000344C: E0511000 80050034
	s_add_u32 m0, 0x300, s48                                   // 000000003454: 807C30FF 00000300
	buffer_load_dword v53, s[20:23], 0 offen lds               // 00000000345C: E0511000 80050035
	s_add_u32 m0, 0x400, s48                                   // 000000003464: 807C30FF 00000400
	buffer_load_dword v54, s[20:23], 0 offen lds               // 00000000346C: E0511000 80050036
	s_add_u32 m0, 0x500, s48                                   // 000000003474: 807C30FF 00000500
	buffer_load_dword v55, s[20:23], 0 offen lds               // 00000000347C: E0511000 80050037
	s_add_u32 m0, 0x600, s48                                   // 000000003484: 807C30FF 00000600
	buffer_load_dword v56, s[20:23], 0 offen lds               // 00000000348C: E0511000 80050038
	s_add_u32 m0, 0x700, s48                                   // 000000003494: 807C30FF 00000700
	buffer_load_dword v57, s[20:23], 0 offen lds               // 00000000349C: E0511000 80050039
	s_add_u32 m0, 0x800, s48                                   // 0000000034A4: 807C30FF 00000800
	buffer_load_dword v58, s[20:23], 0 offen lds               // 0000000034AC: E0511000 8005003A
	s_add_u32 m0, 0x900, s48                                   // 0000000034B4: 807C30FF 00000900
	buffer_load_dword v59, s[20:23], 0 offen lds               // 0000000034BC: E0511000 8005003B
	s_add_u32 m0, 0, s49                                       // 0000000034C4: 807C3180
	s_add_u32 s20, s57, s20                                    // 0000000034C8: 80141439
	s_addc_u32 s21, 0, s21                                     // 0000000034CC: 82151580
	buffer_load_dwordx4 a[80:83], v60, s[24:27], 0 offen       // 0000000034D0: E05C1000 8086503C
	buffer_load_dwordx4 a[84:87], v60, s[24:27], 0 offen offset:1024// 0000000034D8: E05C1400 8086543C
	buffer_load_dwordx4 a[88:91], v61, s[24:27], 0 offen       // 0000000034E0: E05C1000 8086583D
	buffer_load_dwordx4 a[92:95], v61, s[24:27], 0 offen offset:1024// 0000000034E8: E05C1400 80865C3D
	buffer_load_dwordx4 a[96:99], v62, s[24:27], 0 offen       // 0000000034F0: E05C1000 8086603E
	buffer_load_dwordx4 a[100:103], v62, s[24:27], 0 offen offset:1024// 0000000034F8: E05C1400 8086643E
	buffer_load_dwordx4 a[104:107], v63, s[24:27], 0 offen     // 000000003500: E05C1000 8086683F
	buffer_load_dwordx4 a[108:111], v63, s[24:27], 0 offen offset:1024// 000000003508: E05C1400 80866C3F
	s_add_u32 s24, s58, s24                                    // 000000003510: 8018183A
	s_addc_u32 s25, 0, s25                                     // 000000003514: 82191980
	buffer_load_dword v50, s[20:23], 0 offen lds               // 000000003518: E0511000 80050032
	s_add_u32 m0, 0x100, s49                                   // 000000003520: 807C31FF 00000100
	buffer_load_dword v51, s[20:23], 0 offen lds               // 000000003528: E0511000 80050033
	s_add_u32 m0, 0x200, s49                                   // 000000003530: 807C31FF 00000200
	;; [unrolled: 2-line block ×8, first 2 shown]
	buffer_load_dword v58, s[20:23], 0 offen lds               // 000000003598: E0511000 8005003A
	s_add_u32 m0, 0x900, s49                                   // 0000000035A0: 807C31FF 00000900
	buffer_load_dword v59, s[20:23], 0 offen lds               // 0000000035A8: E0511000 8005003B
	s_add_u32 m0, 0, s50                                       // 0000000035B0: 807C3280
	s_add_u32 s20, s57, s20                                    // 0000000035B4: 80141439
	s_addc_u32 s21, 0, s21                                     // 0000000035B8: 82151580
	buffer_load_dwordx4 a[112:115], v60, s[84:87], 0 offen     // 0000000035BC: E05C1000 8095703C
	buffer_load_dwordx4 a[116:119], v60, s[84:87], 0 offen offset:1024// 0000000035C4: E05C1400 8095743C
	buffer_load_dwordx4 a[120:123], v61, s[84:87], 0 offen     // 0000000035CC: E05C1000 8095783D
	buffer_load_dwordx4 a[124:127], v61, s[84:87], 0 offen offset:1024// 0000000035D4: E05C1400 80957C3D
	buffer_load_dwordx4 a[128:131], v62, s[84:87], 0 offen     // 0000000035DC: E05C1000 8095803E
	buffer_load_dwordx4 a[132:135], v62, s[84:87], 0 offen offset:1024// 0000000035E4: E05C1400 8095843E
	buffer_load_dwordx4 a[136:139], v63, s[84:87], 0 offen     // 0000000035EC: E05C1000 8095883F
	buffer_load_dwordx4 a[140:143], v63, s[84:87], 0 offen offset:1024// 0000000035F4: E05C1400 80958C3F
	s_add_u32 s84, s83, s84                                    // 0000000035FC: 80545453
	s_addc_u32 s85, 0, s85                                     // 000000003600: 82555580
	s_waitcnt vmcnt(26)                                        // 000000003604: BF8C4F7A
	s_barrier                                                  // 000000003608: BF8A0000
	ds_read_b128 a[0:3], v2                                    // 00000000360C: DBFE0000 00000002
	ds_read_b128 a[4:7], v2 offset:64                          // 000000003614: DBFE0040 04000002
	ds_read_b128 a[8:11], v2 offset:512                        // 00000000361C: DBFE0200 08000002
	ds_read_b128 a[12:15], v2 offset:576                       // 000000003624: DBFE0240 0C000002
	ds_read_b128 a[16:19], v2 offset:1024                      // 00000000362C: DBFE0400 10000002
	ds_read_b128 a[20:23], v2 offset:1088                      // 000000003634: DBFE0440 14000002
	ds_read_b128 a[24:27], v2 offset:1536                      // 00000000363C: DBFE0600 18000002
	ds_read_b128 a[28:31], v2 offset:1600                      // 000000003644: DBFE0640 1C000002
	ds_read_b128 a[32:35], v2 offset:2048                      // 00000000364C: DBFE0800 20000002
	ds_read_b128 a[36:39], v2 offset:2112                      // 000000003654: DBFE0840 24000002
	s_cmp_lt_i32 s7, 2                                         // 00000000365C: BF048207
	s_cbranch_scc0 label_2016                                  // 000000003660: BF841CFA

0000000000003664 <label_0319>:
	s_waitcnt vmcnt(18) lgkmcnt(0)                             // 000000003664: BF8C4072
	v_mfma_f32_16x16x32_fp8_fp8 v[64:67], a[80:81], a[0:1], v[64:67]// 000000003668: D3F30040 1D020150
	v_mfma_f32_16x16x32_fp8_fp8 v[64:67], a[82:83], a[2:3], v[64:67]// 000000003670: D3F30040 1D020552
	buffer_load_dwordx4 a[144:147], v60, s[24:27], 0 offen     // 000000003678: E05C1000 8086903C
	v_mfma_f32_16x16x32_fp8_fp8 v[64:67], a[84:85], a[4:5], v[64:67]// 000000003680: D3F30040 1D020954
	v_mfma_f32_16x16x32_fp8_fp8 v[64:67], a[86:87], a[6:7], v[64:67]// 000000003688: D3F30040 1D020D56
	v_mfma_f32_16x16x32_fp8_fp8 v[84:87], a[88:89], a[0:1], v[84:87]// 000000003690: D3F30054 1D520158
	v_mfma_f32_16x16x32_fp8_fp8 v[84:87], a[90:91], a[2:3], v[84:87]// 000000003698: D3F30054 1D52055A
	buffer_load_dwordx4 a[148:151], v60, s[24:27], 0 offen offset:1024// 0000000036A0: E05C1400 8086943C
	v_mfma_f32_16x16x32_fp8_fp8 v[84:87], a[92:93], a[4:5], v[84:87]// 0000000036A8: D3F30054 1D52095C
	v_mfma_f32_16x16x32_fp8_fp8 v[84:87], a[94:95], a[6:7], v[84:87]// 0000000036B0: D3F30054 1D520D5E
	v_mfma_f32_16x16x32_fp8_fp8 v[104:107], a[96:97], a[0:1], v[104:107]// 0000000036B8: D3F30068 1DA20160
	v_mfma_f32_16x16x32_fp8_fp8 v[104:107], a[98:99], a[2:3], v[104:107]// 0000000036C0: D3F30068 1DA20562
	buffer_load_dwordx4 a[152:155], v61, s[24:27], 0 offen     // 0000000036C8: E05C1000 8086983D
	v_mfma_f32_16x16x32_fp8_fp8 v[104:107], a[100:101], a[4:5], v[104:107]// 0000000036D0: D3F30068 1DA20964
	v_mfma_f32_16x16x32_fp8_fp8 v[104:107], a[102:103], a[6:7], v[104:107]// 0000000036D8: D3F30068 1DA20D66
	v_mfma_f32_16x16x32_fp8_fp8 v[124:127], a[104:105], a[0:1], v[124:127]// 0000000036E0: D3F3007C 1DF20168
	v_mfma_f32_16x16x32_fp8_fp8 v[124:127], a[106:107], a[2:3], v[124:127]// 0000000036E8: D3F3007C 1DF2056A
	buffer_load_dwordx4 a[156:159], v61, s[24:27], 0 offen offset:1024// 0000000036F0: E05C1400 80869C3D
	v_mfma_f32_16x16x32_fp8_fp8 v[124:127], a[108:109], a[4:5], v[124:127]// 0000000036F8: D3F3007C 1DF2096C
	v_mfma_f32_16x16x32_fp8_fp8 v[124:127], a[110:111], a[6:7], v[124:127]// 000000003700: D3F3007C 1DF20D6E
	v_mfma_f32_16x16x32_fp8_fp8 v[68:71], a[80:81], a[8:9], v[68:71]// 000000003708: D3F30044 1D121150
	v_mfma_f32_16x16x32_fp8_fp8 v[68:71], a[82:83], a[10:11], v[68:71]// 000000003710: D3F30044 1D121552
	buffer_load_dwordx4 a[160:163], v62, s[24:27], 0 offen     // 000000003718: E05C1000 8086A03E
	v_mfma_f32_16x16x32_fp8_fp8 v[68:71], a[84:85], a[12:13], v[68:71]// 000000003720: D3F30044 1D121954
	v_mfma_f32_16x16x32_fp8_fp8 v[68:71], a[86:87], a[14:15], v[68:71]// 000000003728: D3F30044 1D121D56
	v_mfma_f32_16x16x32_fp8_fp8 v[88:91], a[88:89], a[8:9], v[88:91]// 000000003730: D3F30058 1D621158
	v_mfma_f32_16x16x32_fp8_fp8 v[88:91], a[90:91], a[10:11], v[88:91]// 000000003738: D3F30058 1D62155A
	buffer_load_dwordx4 a[164:167], v62, s[24:27], 0 offen offset:1024// 000000003740: E05C1400 8086A43E
	v_mfma_f32_16x16x32_fp8_fp8 v[88:91], a[92:93], a[12:13], v[88:91]// 000000003748: D3F30058 1D62195C
	v_mfma_f32_16x16x32_fp8_fp8 v[88:91], a[94:95], a[14:15], v[88:91]// 000000003750: D3F30058 1D621D5E
	v_mfma_f32_16x16x32_fp8_fp8 v[108:111], a[96:97], a[8:9], v[108:111]// 000000003758: D3F3006C 1DB21160
	v_mfma_f32_16x16x32_fp8_fp8 v[108:111], a[98:99], a[10:11], v[108:111]// 000000003760: D3F3006C 1DB21562
	buffer_load_dwordx4 a[168:171], v63, s[24:27], 0 offen     // 000000003768: E05C1000 8086A83F
	v_mfma_f32_16x16x32_fp8_fp8 v[108:111], a[100:101], a[12:13], v[108:111]// 000000003770: D3F3006C 1DB21964
	v_mfma_f32_16x16x32_fp8_fp8 v[108:111], a[102:103], a[14:15], v[108:111]// 000000003778: D3F3006C 1DB21D66
	v_mfma_f32_16x16x32_fp8_fp8 v[128:131], a[104:105], a[8:9], v[128:131]// 000000003780: D3F30080 1E021168
	v_mfma_f32_16x16x32_fp8_fp8 v[128:131], a[106:107], a[10:11], v[128:131]// 000000003788: D3F30080 1E02156A
	buffer_load_dwordx4 a[172:175], v63, s[24:27], 0 offen offset:1024// 000000003790: E05C1400 8086AC3F
	buffer_load_dword v50, s[20:23], 0 offen lds               // 000000003798: E0511000 80050032
	s_add_u32 m0, 0x100, s50                                   // 0000000037A0: 807C32FF 00000100
	v_mfma_f32_16x16x32_fp8_fp8 v[128:131], a[108:109], a[12:13], v[128:131]// 0000000037A8: D3F30080 1E02196C
	v_mfma_f32_16x16x32_fp8_fp8 v[128:131], a[110:111], a[14:15], v[128:131]// 0000000037B0: D3F30080 1E021D6E
	buffer_load_dword v51, s[20:23], 0 offen lds               // 0000000037B8: E0511000 80050033
	s_add_u32 m0, 0x200, s50                                   // 0000000037C0: 807C32FF 00000200
	v_mfma_f32_16x16x32_fp8_fp8 v[72:75], a[80:81], a[16:17], v[72:75]// 0000000037C8: D3F30048 1D222150
	v_mfma_f32_16x16x32_fp8_fp8 v[72:75], a[82:83], a[18:19], v[72:75]// 0000000037D0: D3F30048 1D222552
	buffer_load_dword v52, s[20:23], 0 offen lds               // 0000000037D8: E0511000 80050034
	s_add_u32 m0, 0x300, s50                                   // 0000000037E0: 807C32FF 00000300
	v_mfma_f32_16x16x32_fp8_fp8 v[72:75], a[84:85], a[20:21], v[72:75]// 0000000037E8: D3F30048 1D222954
	v_mfma_f32_16x16x32_fp8_fp8 v[72:75], a[86:87], a[22:23], v[72:75]// 0000000037F0: D3F30048 1D222D56
	buffer_load_dword v53, s[20:23], 0 offen lds               // 0000000037F8: E0511000 80050035
	s_add_u32 m0, 0x400, s50                                   // 000000003800: 807C32FF 00000400
	v_mfma_f32_16x16x32_fp8_fp8 v[92:95], a[88:89], a[16:17], v[92:95]// 000000003808: D3F3005C 1D722158
	v_mfma_f32_16x16x32_fp8_fp8 v[92:95], a[90:91], a[18:19], v[92:95]// 000000003810: D3F3005C 1D72255A
	buffer_load_dword v54, s[20:23], 0 offen lds               // 000000003818: E0511000 80050036
	s_add_u32 m0, 0x500, s50                                   // 000000003820: 807C32FF 00000500
	v_mfma_f32_16x16x32_fp8_fp8 v[92:95], a[92:93], a[20:21], v[92:95]// 000000003828: D3F3005C 1D72295C
	v_mfma_f32_16x16x32_fp8_fp8 v[92:95], a[94:95], a[22:23], v[92:95]// 000000003830: D3F3005C 1D722D5E
	buffer_load_dword v55, s[20:23], 0 offen lds               // 000000003838: E0511000 80050037
	s_add_u32 m0, 0x600, s50                                   // 000000003840: 807C32FF 00000600
	v_mfma_f32_16x16x32_fp8_fp8 v[112:115], a[96:97], a[16:17], v[112:115]// 000000003848: D3F30070 1DC22160
	v_mfma_f32_16x16x32_fp8_fp8 v[112:115], a[98:99], a[18:19], v[112:115]// 000000003850: D3F30070 1DC22562
	buffer_load_dword v56, s[20:23], 0 offen lds               // 000000003858: E0511000 80050038
	s_add_u32 m0, 0x700, s50                                   // 000000003860: 807C32FF 00000700
	v_mfma_f32_16x16x32_fp8_fp8 v[112:115], a[100:101], a[20:21], v[112:115]// 000000003868: D3F30070 1DC22964
	v_mfma_f32_16x16x32_fp8_fp8 v[112:115], a[102:103], a[22:23], v[112:115]// 000000003870: D3F30070 1DC22D66
	buffer_load_dword v57, s[20:23], 0 offen lds               // 000000003878: E0511000 80050039
	s_add_u32 m0, 0x800, s50                                   // 000000003880: 807C32FF 00000800
	v_mfma_f32_16x16x32_fp8_fp8 v[132:135], a[104:105], a[16:17], v[132:135]// 000000003888: D3F30084 1E122168
	v_mfma_f32_16x16x32_fp8_fp8 v[132:135], a[106:107], a[18:19], v[132:135]// 000000003890: D3F30084 1E12256A
	buffer_load_dword v58, s[20:23], 0 offen lds               // 000000003898: E0511000 8005003A
	s_add_u32 m0, 0x900, s50                                   // 0000000038A0: 807C32FF 00000900
	v_mfma_f32_16x16x32_fp8_fp8 v[132:135], a[108:109], a[20:21], v[132:135]// 0000000038A8: D3F30084 1E12296C
	v_mfma_f32_16x16x32_fp8_fp8 v[132:135], a[110:111], a[22:23], v[132:135]// 0000000038B0: D3F30084 1E122D6E
	buffer_load_dword v59, s[20:23], 0 offen lds               // 0000000038B8: E0511000 8005003B
	s_add_u32 m0, 0, s48                                       // 0000000038C0: 807C3080
	v_mfma_f32_16x16x32_fp8_fp8 v[76:79], a[80:81], a[24:25], v[76:79]// 0000000038C4: D3F3004C 1D323150
	v_mfma_f32_16x16x32_fp8_fp8 v[76:79], a[82:83], a[26:27], v[76:79]// 0000000038CC: D3F3004C 1D323552
	v_mfma_f32_16x16x32_fp8_fp8 v[76:79], a[84:85], a[28:29], v[76:79]// 0000000038D4: D3F3004C 1D323954
	v_mfma_f32_16x16x32_fp8_fp8 v[76:79], a[86:87], a[30:31], v[76:79]// 0000000038DC: D3F3004C 1D323D56
	v_mfma_f32_16x16x32_fp8_fp8 v[96:99], a[88:89], a[24:25], v[96:99]// 0000000038E4: D3F30060 1D823158
	v_mfma_f32_16x16x32_fp8_fp8 v[96:99], a[90:91], a[26:27], v[96:99]// 0000000038EC: D3F30060 1D82355A
	v_mfma_f32_16x16x32_fp8_fp8 v[96:99], a[92:93], a[28:29], v[96:99]// 0000000038F4: D3F30060 1D82395C
	v_mfma_f32_16x16x32_fp8_fp8 v[96:99], a[94:95], a[30:31], v[96:99]// 0000000038FC: D3F30060 1D823D5E
	v_mfma_f32_16x16x32_fp8_fp8 v[116:119], a[96:97], a[24:25], v[116:119]// 000000003904: D3F30074 1DD23160
	v_mfma_f32_16x16x32_fp8_fp8 v[116:119], a[98:99], a[26:27], v[116:119]// 00000000390C: D3F30074 1DD23562
	v_mfma_f32_16x16x32_fp8_fp8 v[116:119], a[100:101], a[28:29], v[116:119]// 000000003914: D3F30074 1DD23964
	v_mfma_f32_16x16x32_fp8_fp8 v[116:119], a[102:103], a[30:31], v[116:119]// 00000000391C: D3F30074 1DD23D66
	v_mfma_f32_16x16x32_fp8_fp8 v[136:139], a[104:105], a[24:25], v[136:139]// 000000003924: D3F30088 1E223168
	v_mfma_f32_16x16x32_fp8_fp8 v[136:139], a[106:107], a[26:27], v[136:139]// 00000000392C: D3F30088 1E22356A
	v_mfma_f32_16x16x32_fp8_fp8 v[136:139], a[108:109], a[28:29], v[136:139]// 000000003934: D3F30088 1E22396C
	v_mfma_f32_16x16x32_fp8_fp8 v[136:139], a[110:111], a[30:31], v[136:139]// 00000000393C: D3F30088 1E223D6E
	v_mfma_f32_16x16x32_fp8_fp8 v[80:83], a[80:81], a[32:33], v[80:83]// 000000003944: D3F30050 1D424150
	v_mfma_f32_16x16x32_fp8_fp8 v[80:83], a[82:83], a[34:35], v[80:83]// 00000000394C: D3F30050 1D424552
	v_mfma_f32_16x16x32_fp8_fp8 v[80:83], a[84:85], a[36:37], v[80:83]// 000000003954: D3F30050 1D424954
	v_mfma_f32_16x16x32_fp8_fp8 v[80:83], a[86:87], a[38:39], v[80:83]// 00000000395C: D3F30050 1D424D56
	v_mfma_f32_16x16x32_fp8_fp8 v[100:103], a[88:89], a[32:33], v[100:103]// 000000003964: D3F30064 1D924158
	v_mfma_f32_16x16x32_fp8_fp8 v[100:103], a[90:91], a[34:35], v[100:103]// 00000000396C: D3F30064 1D92455A
	v_mfma_f32_16x16x32_fp8_fp8 v[100:103], a[92:93], a[36:37], v[100:103]// 000000003974: D3F30064 1D92495C
	v_mfma_f32_16x16x32_fp8_fp8 v[100:103], a[94:95], a[38:39], v[100:103]// 00000000397C: D3F30064 1D924D5E
	v_mfma_f32_16x16x32_fp8_fp8 v[120:123], a[96:97], a[32:33], v[120:123]// 000000003984: D3F30078 1DE24160
	v_mfma_f32_16x16x32_fp8_fp8 v[120:123], a[98:99], a[34:35], v[120:123]// 00000000398C: D3F30078 1DE24562
	v_mfma_f32_16x16x32_fp8_fp8 v[120:123], a[100:101], a[36:37], v[120:123]// 000000003994: D3F30078 1DE24964
	v_mfma_f32_16x16x32_fp8_fp8 v[120:123], a[102:103], a[38:39], v[120:123]// 00000000399C: D3F30078 1DE24D66
	v_mfma_f32_16x16x32_fp8_fp8 v[140:143], a[104:105], a[32:33], v[140:143]// 0000000039A4: D3F3008C 1E324168
	v_mfma_f32_16x16x32_fp8_fp8 v[140:143], a[106:107], a[34:35], v[140:143]// 0000000039AC: D3F3008C 1E32456A
	v_mfma_f32_16x16x32_fp8_fp8 v[140:143], a[108:109], a[36:37], v[140:143]// 0000000039B4: D3F3008C 1E32496C
	v_mfma_f32_16x16x32_fp8_fp8 v[140:143], a[110:111], a[38:39], v[140:143]// 0000000039BC: D3F3008C 1E324D6E
	s_waitcnt vmcnt(18)                                        // 0000000039C4: BF8C4F72
	s_barrier                                                  // 0000000039C8: BF8A0000
	v_mfma_f32_16x16x32_fp8_fp8 v[144:147], a[112:113], a[0:1], v[144:147]// 0000000039CC: D3F30090 1E420170
	v_mfma_f32_16x16x32_fp8_fp8 v[144:147], a[114:115], a[2:3], v[144:147]// 0000000039D4: D3F30090 1E420572
	buffer_load_dwordx4 a[80:83], v60, s[84:87], 0 offen       // 0000000039DC: E05C1000 8095503C
	v_mfma_f32_16x16x32_fp8_fp8 v[144:147], a[116:117], a[4:5], v[144:147]// 0000000039E4: D3F30090 1E420974
	v_mfma_f32_16x16x32_fp8_fp8 v[144:147], a[118:119], a[6:7], v[144:147]// 0000000039EC: D3F30090 1E420D76
	ds_read_b128 a[40:43], v2 offset:10368                     // 0000000039F4: DBFE2880 28000002
	ds_read_b128 a[44:47], v2 offset:10432                     // 0000000039FC: DBFE28C0 2C000002
	v_mfma_f32_16x16x32_fp8_fp8 v[164:167], a[120:121], a[0:1], v[164:167]// 000000003A04: D3F300A4 1E920178
	v_mfma_f32_16x16x32_fp8_fp8 v[164:167], a[122:123], a[2:3], v[164:167]// 000000003A0C: D3F300A4 1E92057A
	buffer_load_dwordx4 a[84:87], v60, s[84:87], 0 offen offset:1024// 000000003A14: E05C1400 8095543C
	v_mfma_f32_16x16x32_fp8_fp8 v[164:167], a[124:125], a[4:5], v[164:167]// 000000003A1C: D3F300A4 1E92097C
	v_mfma_f32_16x16x32_fp8_fp8 v[164:167], a[126:127], a[6:7], v[164:167]// 000000003A24: D3F300A4 1E920D7E
	ds_read_b128 a[48:51], v2 offset:10880                     // 000000003A2C: DBFE2A80 30000002
	ds_read_b128 a[52:55], v2 offset:10944                     // 000000003A34: DBFE2AC0 34000002
	v_mfma_f32_16x16x32_fp8_fp8 v[184:187], a[128:129], a[0:1], v[184:187]// 000000003A3C: D3F300B8 1EE20180
	v_mfma_f32_16x16x32_fp8_fp8 v[184:187], a[130:131], a[2:3], v[184:187]// 000000003A44: D3F300B8 1EE20582
	buffer_load_dwordx4 a[88:91], v61, s[84:87], 0 offen       // 000000003A4C: E05C1000 8095583D
	v_mfma_f32_16x16x32_fp8_fp8 v[184:187], a[132:133], a[4:5], v[184:187]// 000000003A54: D3F300B8 1EE20984
	v_mfma_f32_16x16x32_fp8_fp8 v[184:187], a[134:135], a[6:7], v[184:187]// 000000003A5C: D3F300B8 1EE20D86
	ds_read_b128 a[56:59], v2 offset:11392                     // 000000003A64: DBFE2C80 38000002
	ds_read_b128 a[60:63], v2 offset:11456                     // 000000003A6C: DBFE2CC0 3C000002
	v_mfma_f32_16x16x32_fp8_fp8 v[204:207], a[136:137], a[0:1], v[204:207]// 000000003A74: D3F300CC 1F320188
	v_mfma_f32_16x16x32_fp8_fp8 v[204:207], a[138:139], a[2:3], v[204:207]// 000000003A7C: D3F300CC 1F32058A
	buffer_load_dwordx4 a[92:95], v61, s[84:87], 0 offen offset:1024// 000000003A84: E05C1400 80955C3D
	v_mfma_f32_16x16x32_fp8_fp8 v[204:207], a[140:141], a[4:5], v[204:207]// 000000003A8C: D3F300CC 1F32098C
	v_mfma_f32_16x16x32_fp8_fp8 v[204:207], a[142:143], a[6:7], v[204:207]// 000000003A94: D3F300CC 1F320D8E
	ds_read_b128 a[64:67], v2 offset:11904                     // 000000003A9C: DBFE2E80 40000002
	ds_read_b128 a[68:71], v2 offset:11968                     // 000000003AA4: DBFE2EC0 44000002
	v_mfma_f32_16x16x32_fp8_fp8 v[148:151], a[112:113], a[8:9], v[148:151]// 000000003AAC: D3F30094 1E521170
	v_mfma_f32_16x16x32_fp8_fp8 v[148:151], a[114:115], a[10:11], v[148:151]// 000000003AB4: D3F30094 1E521572
	buffer_load_dwordx4 a[96:99], v62, s[84:87], 0 offen       // 000000003ABC: E05C1000 8095603E
	v_mfma_f32_16x16x32_fp8_fp8 v[148:151], a[116:117], a[12:13], v[148:151]// 000000003AC4: D3F30094 1E521974
	v_mfma_f32_16x16x32_fp8_fp8 v[148:151], a[118:119], a[14:15], v[148:151]// 000000003ACC: D3F30094 1E521D76
	ds_read_b128 a[72:75], v2 offset:12416                     // 000000003AD4: DBFE3080 48000002
	ds_read_b128 a[76:79], v2 offset:12480                     // 000000003ADC: DBFE30C0 4C000002
	v_mfma_f32_16x16x32_fp8_fp8 v[168:171], a[120:121], a[8:9], v[168:171]// 000000003AE4: D3F300A8 1EA21178
	v_mfma_f32_16x16x32_fp8_fp8 v[168:171], a[122:123], a[10:11], v[168:171]// 000000003AEC: D3F300A8 1EA2157A
	buffer_load_dwordx4 a[100:103], v62, s[84:87], 0 offen offset:1024// 000000003AF4: E05C1400 8095643E
	v_mfma_f32_16x16x32_fp8_fp8 v[168:171], a[124:125], a[12:13], v[168:171]// 000000003AFC: D3F300A8 1EA2197C
	v_mfma_f32_16x16x32_fp8_fp8 v[168:171], a[126:127], a[14:15], v[168:171]// 000000003B04: D3F300A8 1EA21D7E
	v_mfma_f32_16x16x32_fp8_fp8 v[188:191], a[128:129], a[8:9], v[188:191]// 000000003B0C: D3F300BC 1EF21180
	v_mfma_f32_16x16x32_fp8_fp8 v[188:191], a[130:131], a[10:11], v[188:191]// 000000003B14: D3F300BC 1EF21582
	buffer_load_dwordx4 a[104:107], v63, s[84:87], 0 offen     // 000000003B1C: E05C1000 8095683F
	v_mfma_f32_16x16x32_fp8_fp8 v[188:191], a[132:133], a[12:13], v[188:191]// 000000003B24: D3F300BC 1EF21984
	v_mfma_f32_16x16x32_fp8_fp8 v[188:191], a[134:135], a[14:15], v[188:191]// 000000003B2C: D3F300BC 1EF21D86
	v_mfma_f32_16x16x32_fp8_fp8 v[208:211], a[136:137], a[8:9], v[208:211]// 000000003B34: D3F300D0 1F421188
	v_mfma_f32_16x16x32_fp8_fp8 v[208:211], a[138:139], a[10:11], v[208:211]// 000000003B3C: D3F300D0 1F42158A
	buffer_load_dwordx4 a[108:111], v63, s[84:87], 0 offen offset:1024// 000000003B44: E05C1400 80956C3F
	v_mfma_f32_16x16x32_fp8_fp8 v[208:211], a[140:141], a[12:13], v[208:211]// 000000003B4C: D3F300D0 1F42198C
	v_mfma_f32_16x16x32_fp8_fp8 v[208:211], a[142:143], a[14:15], v[208:211]// 000000003B54: D3F300D0 1F421D8E
	v_mfma_f32_16x16x32_fp8_fp8 v[152:155], a[112:113], a[16:17], v[152:155]// 000000003B5C: D3F30098 1E622170
	v_mfma_f32_16x16x32_fp8_fp8 v[152:155], a[114:115], a[18:19], v[152:155]// 000000003B64: D3F30098 1E622572
	v_mfma_f32_16x16x32_fp8_fp8 v[152:155], a[116:117], a[20:21], v[152:155]// 000000003B6C: D3F30098 1E622974
	v_mfma_f32_16x16x32_fp8_fp8 v[152:155], a[118:119], a[22:23], v[152:155]// 000000003B74: D3F30098 1E622D76
	v_mfma_f32_16x16x32_fp8_fp8 v[172:175], a[120:121], a[16:17], v[172:175]// 000000003B7C: D3F300AC 1EB22178
	v_mfma_f32_16x16x32_fp8_fp8 v[172:175], a[122:123], a[18:19], v[172:175]// 000000003B84: D3F300AC 1EB2257A
	v_mfma_f32_16x16x32_fp8_fp8 v[172:175], a[124:125], a[20:21], v[172:175]// 000000003B8C: D3F300AC 1EB2297C
	v_mfma_f32_16x16x32_fp8_fp8 v[172:175], a[126:127], a[22:23], v[172:175]// 000000003B94: D3F300AC 1EB22D7E
	v_mfma_f32_16x16x32_fp8_fp8 v[192:195], a[128:129], a[16:17], v[192:195]// 000000003B9C: D3F300C0 1F022180
	v_mfma_f32_16x16x32_fp8_fp8 v[192:195], a[130:131], a[18:19], v[192:195]// 000000003BA4: D3F300C0 1F022582
	v_mfma_f32_16x16x32_fp8_fp8 v[192:195], a[132:133], a[20:21], v[192:195]// 000000003BAC: D3F300C0 1F022984
	v_mfma_f32_16x16x32_fp8_fp8 v[192:195], a[134:135], a[22:23], v[192:195]// 000000003BB4: D3F300C0 1F022D86
	v_mfma_f32_16x16x32_fp8_fp8 v[212:215], a[136:137], a[16:17], v[212:215]// 000000003BBC: D3F300D4 1F522188
	v_mfma_f32_16x16x32_fp8_fp8 v[212:215], a[138:139], a[18:19], v[212:215]// 000000003BC4: D3F300D4 1F52258A
	v_mfma_f32_16x16x32_fp8_fp8 v[212:215], a[140:141], a[20:21], v[212:215]// 000000003BCC: D3F300D4 1F52298C
	v_mfma_f32_16x16x32_fp8_fp8 v[212:215], a[142:143], a[22:23], v[212:215]// 000000003BD4: D3F300D4 1F522D8E
	v_mfma_f32_16x16x32_fp8_fp8 v[156:159], a[112:113], a[24:25], v[156:159]// 000000003BDC: D3F3009C 1E723170
	v_mfma_f32_16x16x32_fp8_fp8 v[156:159], a[114:115], a[26:27], v[156:159]// 000000003BE4: D3F3009C 1E723572
	v_mfma_f32_16x16x32_fp8_fp8 v[156:159], a[116:117], a[28:29], v[156:159]// 000000003BEC: D3F3009C 1E723974
	v_mfma_f32_16x16x32_fp8_fp8 v[156:159], a[118:119], a[30:31], v[156:159]// 000000003BF4: D3F3009C 1E723D76
	v_mfma_f32_16x16x32_fp8_fp8 v[176:179], a[120:121], a[24:25], v[176:179]// 000000003BFC: D3F300B0 1EC23178
	v_mfma_f32_16x16x32_fp8_fp8 v[176:179], a[122:123], a[26:27], v[176:179]// 000000003C04: D3F300B0 1EC2357A
	v_mfma_f32_16x16x32_fp8_fp8 v[176:179], a[124:125], a[28:29], v[176:179]// 000000003C0C: D3F300B0 1EC2397C
	v_mfma_f32_16x16x32_fp8_fp8 v[176:179], a[126:127], a[30:31], v[176:179]// 000000003C14: D3F300B0 1EC23D7E
	v_mfma_f32_16x16x32_fp8_fp8 v[196:199], a[128:129], a[24:25], v[196:199]// 000000003C1C: D3F300C4 1F123180
	v_mfma_f32_16x16x32_fp8_fp8 v[196:199], a[130:131], a[26:27], v[196:199]// 000000003C24: D3F300C4 1F123582
	v_mfma_f32_16x16x32_fp8_fp8 v[196:199], a[132:133], a[28:29], v[196:199]// 000000003C2C: D3F300C4 1F123984
	v_mfma_f32_16x16x32_fp8_fp8 v[196:199], a[134:135], a[30:31], v[196:199]// 000000003C34: D3F300C4 1F123D86
	v_mfma_f32_16x16x32_fp8_fp8 v[216:219], a[136:137], a[24:25], v[216:219]// 000000003C3C: D3F300D8 1F623188
	v_mfma_f32_16x16x32_fp8_fp8 v[216:219], a[138:139], a[26:27], v[216:219]// 000000003C44: D3F300D8 1F62358A
	v_mfma_f32_16x16x32_fp8_fp8 v[216:219], a[140:141], a[28:29], v[216:219]// 000000003C4C: D3F300D8 1F62398C
	v_mfma_f32_16x16x32_fp8_fp8 v[216:219], a[142:143], a[30:31], v[216:219]// 000000003C54: D3F300D8 1F623D8E
	v_mfma_f32_16x16x32_fp8_fp8 v[160:163], a[112:113], a[32:33], v[160:163]// 000000003C5C: D3F300A0 1E824170
	v_mfma_f32_16x16x32_fp8_fp8 v[160:163], a[114:115], a[34:35], v[160:163]// 000000003C64: D3F300A0 1E824572
	v_mfma_f32_16x16x32_fp8_fp8 v[160:163], a[116:117], a[36:37], v[160:163]// 000000003C6C: D3F300A0 1E824974
	v_mfma_f32_16x16x32_fp8_fp8 v[160:163], a[118:119], a[38:39], v[160:163]// 000000003C74: D3F300A0 1E824D76
	v_mfma_f32_16x16x32_fp8_fp8 v[180:183], a[120:121], a[32:33], v[180:183]// 000000003C7C: D3F300B4 1ED24178
	v_mfma_f32_16x16x32_fp8_fp8 v[180:183], a[122:123], a[34:35], v[180:183]// 000000003C84: D3F300B4 1ED2457A
	v_mfma_f32_16x16x32_fp8_fp8 v[180:183], a[124:125], a[36:37], v[180:183]// 000000003C8C: D3F300B4 1ED2497C
	v_mfma_f32_16x16x32_fp8_fp8 v[180:183], a[126:127], a[38:39], v[180:183]// 000000003C94: D3F300B4 1ED24D7E
	v_mfma_f32_16x16x32_fp8_fp8 v[200:203], a[128:129], a[32:33], v[200:203]// 000000003C9C: D3F300C8 1F224180
	s_add_u32 s60, 0x180, s80                                  // 000000003CA4: 803C50FF 00000180
	s_cmp_lt_u32 s60, s81                                      // 000000003CAC: BF0A513C
	s_cselect_b32 s57, s57, 0                                  // 000000003CB0: 85398039
	v_mfma_f32_16x16x32_fp8_fp8 v[200:203], a[130:131], a[34:35], v[200:203]// 000000003CB4: D3F300C8 1F224582
	s_add_u32 s60, 0x100, s80                                  // 000000003CBC: 803C50FF 00000100
	s_cmp_lt_u32 s60, s81                                      // 000000003CC4: BF0A513C
	s_cselect_b32 s58, s58, 0                                  // 000000003CC8: 853A803A
	v_mfma_f32_16x16x32_fp8_fp8 v[200:203], a[132:133], a[36:37], v[200:203]// 000000003CCC: D3F300C8 1F224984
	s_add_u32 s60, 0x100, s80                                  // 000000003CD4: 803C50FF 00000100
	s_cmp_lt_u32 s60, s81                                      // 000000003CDC: BF0A513C
	s_cselect_b32 s83, s83, 0                                  // 000000003CE0: 85538053
	v_mfma_f32_16x16x32_fp8_fp8 v[200:203], a[134:135], a[38:39], v[200:203]// 000000003CE4: D3F300C8 1F224D86
	s_add_u32 s24, s58, s24                                    // 000000003CEC: 8018183A
	s_addc_u32 s25, 0, s25                                     // 000000003CF0: 82191980
	v_mfma_f32_16x16x32_fp8_fp8 v[220:223], a[136:137], a[32:33], v[220:223]// 000000003CF4: D3F300DC 1F724188
	s_add_u32 s20, s57, s20                                    // 000000003CFC: 80141439
	s_addc_u32 s21, 0, s21                                     // 000000003D00: 82151580
	v_mfma_f32_16x16x32_fp8_fp8 v[220:223], a[138:139], a[34:35], v[220:223]// 000000003D04: D3F300DC 1F72458A
	s_add_u32 s84, s83, s84                                    // 000000003D0C: 80545453
	s_addc_u32 s85, 0, s85                                     // 000000003D10: 82555580
	v_mfma_f32_16x16x32_fp8_fp8 v[220:223], a[140:141], a[36:37], v[220:223]// 000000003D14: D3F300DC 1F72498C
	v_mfma_f32_16x16x32_fp8_fp8 v[220:223], a[142:143], a[38:39], v[220:223]// 000000003D1C: D3F300DC 1F724D8E
	s_addk_i32 s80, 0x80                                       // 000000003D24: B7500080
	s_cmp_lt_i32 s80, s81                                      // 000000003D28: BF045150
	s_cbranch_scc0 label_0D4C                                  // 000000003D2C: BF840880
	s_waitcnt vmcnt(18) lgkmcnt(0)                             // 000000003D30: BF8C4072
	v_mfma_f32_16x16x32_fp8_fp8 v[64:67], a[144:145], a[40:41], v[64:67]// 000000003D34: D3F30040 1D025190
	v_mfma_f32_16x16x32_fp8_fp8 v[64:67], a[146:147], a[42:43], v[64:67]// 000000003D3C: D3F30040 1D025592
	buffer_load_dwordx4 a[112:115], v60, s[24:27], 0 offen     // 000000003D44: E05C1000 8086703C
	v_mfma_f32_16x16x32_fp8_fp8 v[64:67], a[148:149], a[44:45], v[64:67]// 000000003D4C: D3F30040 1D025994
	v_mfma_f32_16x16x32_fp8_fp8 v[64:67], a[150:151], a[46:47], v[64:67]// 000000003D54: D3F30040 1D025D96
	v_mfma_f32_16x16x32_fp8_fp8 v[84:87], a[152:153], a[40:41], v[84:87]// 000000003D5C: D3F30054 1D525198
	v_mfma_f32_16x16x32_fp8_fp8 v[84:87], a[154:155], a[42:43], v[84:87]// 000000003D64: D3F30054 1D52559A
	buffer_load_dwordx4 a[116:119], v60, s[24:27], 0 offen offset:1024// 000000003D6C: E05C1400 8086743C
	v_mfma_f32_16x16x32_fp8_fp8 v[84:87], a[156:157], a[44:45], v[84:87]// 000000003D74: D3F30054 1D52599C
	v_mfma_f32_16x16x32_fp8_fp8 v[84:87], a[158:159], a[46:47], v[84:87]// 000000003D7C: D3F30054 1D525D9E
	v_mfma_f32_16x16x32_fp8_fp8 v[104:107], a[160:161], a[40:41], v[104:107]// 000000003D84: D3F30068 1DA251A0
	v_mfma_f32_16x16x32_fp8_fp8 v[104:107], a[162:163], a[42:43], v[104:107]// 000000003D8C: D3F30068 1DA255A2
	buffer_load_dwordx4 a[120:123], v61, s[24:27], 0 offen     // 000000003D94: E05C1000 8086783D
	v_mfma_f32_16x16x32_fp8_fp8 v[104:107], a[164:165], a[44:45], v[104:107]// 000000003D9C: D3F30068 1DA259A4
	v_mfma_f32_16x16x32_fp8_fp8 v[104:107], a[166:167], a[46:47], v[104:107]// 000000003DA4: D3F30068 1DA25DA6
	v_mfma_f32_16x16x32_fp8_fp8 v[124:127], a[168:169], a[40:41], v[124:127]// 000000003DAC: D3F3007C 1DF251A8
	v_mfma_f32_16x16x32_fp8_fp8 v[124:127], a[170:171], a[42:43], v[124:127]// 000000003DB4: D3F3007C 1DF255AA
	buffer_load_dwordx4 a[124:127], v61, s[24:27], 0 offen offset:1024// 000000003DBC: E05C1400 80867C3D
	v_mfma_f32_16x16x32_fp8_fp8 v[124:127], a[172:173], a[44:45], v[124:127]// 000000003DC4: D3F3007C 1DF259AC
	v_mfma_f32_16x16x32_fp8_fp8 v[124:127], a[174:175], a[46:47], v[124:127]// 000000003DCC: D3F3007C 1DF25DAE
	v_mfma_f32_16x16x32_fp8_fp8 v[68:71], a[144:145], a[48:49], v[68:71]// 000000003DD4: D3F30044 1D126190
	v_mfma_f32_16x16x32_fp8_fp8 v[68:71], a[146:147], a[50:51], v[68:71]// 000000003DDC: D3F30044 1D126592
	buffer_load_dwordx4 a[128:131], v62, s[24:27], 0 offen     // 000000003DE4: E05C1000 8086803E
	v_mfma_f32_16x16x32_fp8_fp8 v[68:71], a[148:149], a[52:53], v[68:71]// 000000003DEC: D3F30044 1D126994
	v_mfma_f32_16x16x32_fp8_fp8 v[68:71], a[150:151], a[54:55], v[68:71]// 000000003DF4: D3F30044 1D126D96
	v_mfma_f32_16x16x32_fp8_fp8 v[88:91], a[152:153], a[48:49], v[88:91]// 000000003DFC: D3F30058 1D626198
	v_mfma_f32_16x16x32_fp8_fp8 v[88:91], a[154:155], a[50:51], v[88:91]// 000000003E04: D3F30058 1D62659A
	buffer_load_dwordx4 a[132:135], v62, s[24:27], 0 offen offset:1024// 000000003E0C: E05C1400 8086843E
	v_mfma_f32_16x16x32_fp8_fp8 v[88:91], a[156:157], a[52:53], v[88:91]// 000000003E14: D3F30058 1D62699C
	v_mfma_f32_16x16x32_fp8_fp8 v[88:91], a[158:159], a[54:55], v[88:91]// 000000003E1C: D3F30058 1D626D9E
	v_mfma_f32_16x16x32_fp8_fp8 v[108:111], a[160:161], a[48:49], v[108:111]// 000000003E24: D3F3006C 1DB261A0
	v_mfma_f32_16x16x32_fp8_fp8 v[108:111], a[162:163], a[50:51], v[108:111]// 000000003E2C: D3F3006C 1DB265A2
	buffer_load_dwordx4 a[136:139], v63, s[24:27], 0 offen     // 000000003E34: E05C1000 8086883F
	v_mfma_f32_16x16x32_fp8_fp8 v[108:111], a[164:165], a[52:53], v[108:111]// 000000003E3C: D3F3006C 1DB269A4
	v_mfma_f32_16x16x32_fp8_fp8 v[108:111], a[166:167], a[54:55], v[108:111]// 000000003E44: D3F3006C 1DB26DA6
	v_mfma_f32_16x16x32_fp8_fp8 v[128:131], a[168:169], a[48:49], v[128:131]// 000000003E4C: D3F30080 1E0261A8
	v_mfma_f32_16x16x32_fp8_fp8 v[128:131], a[170:171], a[50:51], v[128:131]// 000000003E54: D3F30080 1E0265AA
	buffer_load_dwordx4 a[140:143], v63, s[24:27], 0 offen offset:1024// 000000003E5C: E05C1400 80868C3F
	buffer_load_dword v50, s[20:23], 0 offen lds               // 000000003E64: E0511000 80050032
	s_add_u32 m0, 0x100, s48                                   // 000000003E6C: 807C30FF 00000100
	v_mfma_f32_16x16x32_fp8_fp8 v[128:131], a[172:173], a[52:53], v[128:131]// 000000003E74: D3F30080 1E0269AC
	v_mfma_f32_16x16x32_fp8_fp8 v[128:131], a[174:175], a[54:55], v[128:131]// 000000003E7C: D3F30080 1E026DAE
	buffer_load_dword v51, s[20:23], 0 offen lds               // 000000003E84: E0511000 80050033
	s_add_u32 m0, 0x200, s48                                   // 000000003E8C: 807C30FF 00000200
	v_mfma_f32_16x16x32_fp8_fp8 v[72:75], a[144:145], a[56:57], v[72:75]// 000000003E94: D3F30048 1D227190
	v_mfma_f32_16x16x32_fp8_fp8 v[72:75], a[146:147], a[58:59], v[72:75]// 000000003E9C: D3F30048 1D227592
	buffer_load_dword v52, s[20:23], 0 offen lds               // 000000003EA4: E0511000 80050034
	s_add_u32 m0, 0x300, s48                                   // 000000003EAC: 807C30FF 00000300
	v_mfma_f32_16x16x32_fp8_fp8 v[72:75], a[148:149], a[60:61], v[72:75]// 000000003EB4: D3F30048 1D227994
	v_mfma_f32_16x16x32_fp8_fp8 v[72:75], a[150:151], a[62:63], v[72:75]// 000000003EBC: D3F30048 1D227D96
	buffer_load_dword v53, s[20:23], 0 offen lds               // 000000003EC4: E0511000 80050035
	s_add_u32 m0, 0x400, s48                                   // 000000003ECC: 807C30FF 00000400
	v_mfma_f32_16x16x32_fp8_fp8 v[92:95], a[152:153], a[56:57], v[92:95]// 000000003ED4: D3F3005C 1D727198
	v_mfma_f32_16x16x32_fp8_fp8 v[92:95], a[154:155], a[58:59], v[92:95]// 000000003EDC: D3F3005C 1D72759A
	buffer_load_dword v54, s[20:23], 0 offen lds               // 000000003EE4: E0511000 80050036
	s_add_u32 m0, 0x500, s48                                   // 000000003EEC: 807C30FF 00000500
	v_mfma_f32_16x16x32_fp8_fp8 v[92:95], a[156:157], a[60:61], v[92:95]// 000000003EF4: D3F3005C 1D72799C
	v_mfma_f32_16x16x32_fp8_fp8 v[92:95], a[158:159], a[62:63], v[92:95]// 000000003EFC: D3F3005C 1D727D9E
	buffer_load_dword v55, s[20:23], 0 offen lds               // 000000003F04: E0511000 80050037
	s_add_u32 m0, 0x600, s48                                   // 000000003F0C: 807C30FF 00000600
	v_mfma_f32_16x16x32_fp8_fp8 v[112:115], a[160:161], a[56:57], v[112:115]// 000000003F14: D3F30070 1DC271A0
	v_mfma_f32_16x16x32_fp8_fp8 v[112:115], a[162:163], a[58:59], v[112:115]// 000000003F1C: D3F30070 1DC275A2
	buffer_load_dword v56, s[20:23], 0 offen lds               // 000000003F24: E0511000 80050038
	s_add_u32 m0, 0x700, s48                                   // 000000003F2C: 807C30FF 00000700
	v_mfma_f32_16x16x32_fp8_fp8 v[112:115], a[164:165], a[60:61], v[112:115]// 000000003F34: D3F30070 1DC279A4
	v_mfma_f32_16x16x32_fp8_fp8 v[112:115], a[166:167], a[62:63], v[112:115]// 000000003F3C: D3F30070 1DC27DA6
	buffer_load_dword v57, s[20:23], 0 offen lds               // 000000003F44: E0511000 80050039
	s_add_u32 m0, 0x800, s48                                   // 000000003F4C: 807C30FF 00000800
	v_mfma_f32_16x16x32_fp8_fp8 v[132:135], a[168:169], a[56:57], v[132:135]// 000000003F54: D3F30084 1E1271A8
	v_mfma_f32_16x16x32_fp8_fp8 v[132:135], a[170:171], a[58:59], v[132:135]// 000000003F5C: D3F30084 1E1275AA
	buffer_load_dword v58, s[20:23], 0 offen lds               // 000000003F64: E0511000 8005003A
	s_add_u32 m0, 0x900, s48                                   // 000000003F6C: 807C30FF 00000900
	v_mfma_f32_16x16x32_fp8_fp8 v[132:135], a[172:173], a[60:61], v[132:135]// 000000003F74: D3F30084 1E1279AC
	v_mfma_f32_16x16x32_fp8_fp8 v[132:135], a[174:175], a[62:63], v[132:135]// 000000003F7C: D3F30084 1E127DAE
	buffer_load_dword v59, s[20:23], 0 offen lds               // 000000003F84: E0511000 8005003B
	s_add_u32 m0, 0, s49                                       // 000000003F8C: 807C3180
	v_mfma_f32_16x16x32_fp8_fp8 v[76:79], a[144:145], a[64:65], v[76:79]// 000000003F90: D3F3004C 1D328190
	v_mfma_f32_16x16x32_fp8_fp8 v[76:79], a[146:147], a[66:67], v[76:79]// 000000003F98: D3F3004C 1D328592
	v_mfma_f32_16x16x32_fp8_fp8 v[76:79], a[148:149], a[68:69], v[76:79]// 000000003FA0: D3F3004C 1D328994
	v_mfma_f32_16x16x32_fp8_fp8 v[76:79], a[150:151], a[70:71], v[76:79]// 000000003FA8: D3F3004C 1D328D96
	v_mfma_f32_16x16x32_fp8_fp8 v[96:99], a[152:153], a[64:65], v[96:99]// 000000003FB0: D3F30060 1D828198
	v_mfma_f32_16x16x32_fp8_fp8 v[96:99], a[154:155], a[66:67], v[96:99]// 000000003FB8: D3F30060 1D82859A
	v_mfma_f32_16x16x32_fp8_fp8 v[96:99], a[156:157], a[68:69], v[96:99]// 000000003FC0: D3F30060 1D82899C
	v_mfma_f32_16x16x32_fp8_fp8 v[96:99], a[158:159], a[70:71], v[96:99]// 000000003FC8: D3F30060 1D828D9E
	v_mfma_f32_16x16x32_fp8_fp8 v[116:119], a[160:161], a[64:65], v[116:119]// 000000003FD0: D3F30074 1DD281A0
	v_mfma_f32_16x16x32_fp8_fp8 v[116:119], a[162:163], a[66:67], v[116:119]// 000000003FD8: D3F30074 1DD285A2
	v_mfma_f32_16x16x32_fp8_fp8 v[116:119], a[164:165], a[68:69], v[116:119]// 000000003FE0: D3F30074 1DD289A4
	v_mfma_f32_16x16x32_fp8_fp8 v[116:119], a[166:167], a[70:71], v[116:119]// 000000003FE8: D3F30074 1DD28DA6
	v_mfma_f32_16x16x32_fp8_fp8 v[136:139], a[168:169], a[64:65], v[136:139]// 000000003FF0: D3F30088 1E2281A8
	v_mfma_f32_16x16x32_fp8_fp8 v[136:139], a[170:171], a[66:67], v[136:139]// 000000003FF8: D3F30088 1E2285AA
	v_mfma_f32_16x16x32_fp8_fp8 v[136:139], a[172:173], a[68:69], v[136:139]// 000000004000: D3F30088 1E2289AC
	v_mfma_f32_16x16x32_fp8_fp8 v[136:139], a[174:175], a[70:71], v[136:139]// 000000004008: D3F30088 1E228DAE
	v_mfma_f32_16x16x32_fp8_fp8 v[80:83], a[144:145], a[72:73], v[80:83]// 000000004010: D3F30050 1D429190
	v_mfma_f32_16x16x32_fp8_fp8 v[80:83], a[146:147], a[74:75], v[80:83]// 000000004018: D3F30050 1D429592
	v_mfma_f32_16x16x32_fp8_fp8 v[80:83], a[148:149], a[76:77], v[80:83]// 000000004020: D3F30050 1D429994
	v_mfma_f32_16x16x32_fp8_fp8 v[80:83], a[150:151], a[78:79], v[80:83]// 000000004028: D3F30050 1D429D96
	v_mfma_f32_16x16x32_fp8_fp8 v[100:103], a[152:153], a[72:73], v[100:103]// 000000004030: D3F30064 1D929198
	v_mfma_f32_16x16x32_fp8_fp8 v[100:103], a[154:155], a[74:75], v[100:103]// 000000004038: D3F30064 1D92959A
	v_mfma_f32_16x16x32_fp8_fp8 v[100:103], a[156:157], a[76:77], v[100:103]// 000000004040: D3F30064 1D92999C
	v_mfma_f32_16x16x32_fp8_fp8 v[100:103], a[158:159], a[78:79], v[100:103]// 000000004048: D3F30064 1D929D9E
	v_mfma_f32_16x16x32_fp8_fp8 v[120:123], a[160:161], a[72:73], v[120:123]// 000000004050: D3F30078 1DE291A0
	v_mfma_f32_16x16x32_fp8_fp8 v[120:123], a[162:163], a[74:75], v[120:123]// 000000004058: D3F30078 1DE295A2
	v_mfma_f32_16x16x32_fp8_fp8 v[120:123], a[164:165], a[76:77], v[120:123]// 000000004060: D3F30078 1DE299A4
	v_mfma_f32_16x16x32_fp8_fp8 v[120:123], a[166:167], a[78:79], v[120:123]// 000000004068: D3F30078 1DE29DA6
	v_mfma_f32_16x16x32_fp8_fp8 v[140:143], a[168:169], a[72:73], v[140:143]// 000000004070: D3F3008C 1E3291A8
	v_mfma_f32_16x16x32_fp8_fp8 v[140:143], a[170:171], a[74:75], v[140:143]// 000000004078: D3F3008C 1E3295AA
	v_mfma_f32_16x16x32_fp8_fp8 v[140:143], a[172:173], a[76:77], v[140:143]// 000000004080: D3F3008C 1E3299AC
	v_mfma_f32_16x16x32_fp8_fp8 v[140:143], a[174:175], a[78:79], v[140:143]// 000000004088: D3F3008C 1E329DAE
	s_waitcnt vmcnt(18)                                        // 000000004090: BF8C4F72
	s_barrier                                                  // 000000004094: BF8A0000
	v_mfma_f32_16x16x32_fp8_fp8 v[144:147], a[80:81], a[40:41], v[144:147]// 000000004098: D3F30090 1E425150
	v_mfma_f32_16x16x32_fp8_fp8 v[144:147], a[82:83], a[42:43], v[144:147]// 0000000040A0: D3F30090 1E425552
	buffer_load_dwordx4 a[144:147], v60, s[84:87], 0 offen     // 0000000040A8: E05C1000 8095903C
	v_mfma_f32_16x16x32_fp8_fp8 v[144:147], a[84:85], a[44:45], v[144:147]// 0000000040B0: D3F30090 1E425954
	v_mfma_f32_16x16x32_fp8_fp8 v[144:147], a[86:87], a[46:47], v[144:147]// 0000000040B8: D3F30090 1E425D56
	ds_read_b128 a[0:3], v2 offset:20736                       // 0000000040C0: DBFE5100 00000002
	ds_read_b128 a[4:7], v2 offset:20800                       // 0000000040C8: DBFE5140 04000002
	v_mfma_f32_16x16x32_fp8_fp8 v[164:167], a[88:89], a[40:41], v[164:167]// 0000000040D0: D3F300A4 1E925158
	v_mfma_f32_16x16x32_fp8_fp8 v[164:167], a[90:91], a[42:43], v[164:167]// 0000000040D8: D3F300A4 1E92555A
	buffer_load_dwordx4 a[148:151], v60, s[84:87], 0 offen offset:1024// 0000000040E0: E05C1400 8095943C
	v_mfma_f32_16x16x32_fp8_fp8 v[164:167], a[92:93], a[44:45], v[164:167]// 0000000040E8: D3F300A4 1E92595C
	v_mfma_f32_16x16x32_fp8_fp8 v[164:167], a[94:95], a[46:47], v[164:167]// 0000000040F0: D3F300A4 1E925D5E
	ds_read_b128 a[8:11], v2 offset:21248                      // 0000000040F8: DBFE5300 08000002
	ds_read_b128 a[12:15], v2 offset:21312                     // 000000004100: DBFE5340 0C000002
	v_mfma_f32_16x16x32_fp8_fp8 v[184:187], a[96:97], a[40:41], v[184:187]// 000000004108: D3F300B8 1EE25160
	v_mfma_f32_16x16x32_fp8_fp8 v[184:187], a[98:99], a[42:43], v[184:187]// 000000004110: D3F300B8 1EE25562
	buffer_load_dwordx4 a[152:155], v61, s[84:87], 0 offen     // 000000004118: E05C1000 8095983D
	v_mfma_f32_16x16x32_fp8_fp8 v[184:187], a[100:101], a[44:45], v[184:187]// 000000004120: D3F300B8 1EE25964
	v_mfma_f32_16x16x32_fp8_fp8 v[184:187], a[102:103], a[46:47], v[184:187]// 000000004128: D3F300B8 1EE25D66
	ds_read_b128 a[16:19], v2 offset:21760                     // 000000004130: DBFE5500 10000002
	ds_read_b128 a[20:23], v2 offset:21824                     // 000000004138: DBFE5540 14000002
	v_mfma_f32_16x16x32_fp8_fp8 v[204:207], a[104:105], a[40:41], v[204:207]// 000000004140: D3F300CC 1F325168
	v_mfma_f32_16x16x32_fp8_fp8 v[204:207], a[106:107], a[42:43], v[204:207]// 000000004148: D3F300CC 1F32556A
	buffer_load_dwordx4 a[156:159], v61, s[84:87], 0 offen offset:1024// 000000004150: E05C1400 80959C3D
	v_mfma_f32_16x16x32_fp8_fp8 v[204:207], a[108:109], a[44:45], v[204:207]// 000000004158: D3F300CC 1F32596C
	v_mfma_f32_16x16x32_fp8_fp8 v[204:207], a[110:111], a[46:47], v[204:207]// 000000004160: D3F300CC 1F325D6E
	ds_read_b128 a[24:27], v2 offset:22272                     // 000000004168: DBFE5700 18000002
	ds_read_b128 a[28:31], v2 offset:22336                     // 000000004170: DBFE5740 1C000002
	v_mfma_f32_16x16x32_fp8_fp8 v[148:151], a[80:81], a[48:49], v[148:151]// 000000004178: D3F30094 1E526150
	v_mfma_f32_16x16x32_fp8_fp8 v[148:151], a[82:83], a[50:51], v[148:151]// 000000004180: D3F30094 1E526552
	buffer_load_dwordx4 a[160:163], v62, s[84:87], 0 offen     // 000000004188: E05C1000 8095A03E
	v_mfma_f32_16x16x32_fp8_fp8 v[148:151], a[84:85], a[52:53], v[148:151]// 000000004190: D3F30094 1E526954
	v_mfma_f32_16x16x32_fp8_fp8 v[148:151], a[86:87], a[54:55], v[148:151]// 000000004198: D3F30094 1E526D56
	ds_read_b128 a[32:35], v2 offset:22784                     // 0000000041A0: DBFE5900 20000002
	ds_read_b128 a[36:39], v2 offset:22848                     // 0000000041A8: DBFE5940 24000002
	v_mfma_f32_16x16x32_fp8_fp8 v[168:171], a[88:89], a[48:49], v[168:171]// 0000000041B0: D3F300A8 1EA26158
	v_mfma_f32_16x16x32_fp8_fp8 v[168:171], a[90:91], a[50:51], v[168:171]// 0000000041B8: D3F300A8 1EA2655A
	buffer_load_dwordx4 a[164:167], v62, s[84:87], 0 offen offset:1024// 0000000041C0: E05C1400 8095A43E
	v_mfma_f32_16x16x32_fp8_fp8 v[168:171], a[92:93], a[52:53], v[168:171]// 0000000041C8: D3F300A8 1EA2695C
	v_mfma_f32_16x16x32_fp8_fp8 v[168:171], a[94:95], a[54:55], v[168:171]// 0000000041D0: D3F300A8 1EA26D5E
	v_mfma_f32_16x16x32_fp8_fp8 v[188:191], a[96:97], a[48:49], v[188:191]// 0000000041D8: D3F300BC 1EF26160
	v_mfma_f32_16x16x32_fp8_fp8 v[188:191], a[98:99], a[50:51], v[188:191]// 0000000041E0: D3F300BC 1EF26562
	buffer_load_dwordx4 a[168:171], v63, s[84:87], 0 offen     // 0000000041E8: E05C1000 8095A83F
	v_mfma_f32_16x16x32_fp8_fp8 v[188:191], a[100:101], a[52:53], v[188:191]// 0000000041F0: D3F300BC 1EF26964
	v_mfma_f32_16x16x32_fp8_fp8 v[188:191], a[102:103], a[54:55], v[188:191]// 0000000041F8: D3F300BC 1EF26D66
	v_mfma_f32_16x16x32_fp8_fp8 v[208:211], a[104:105], a[48:49], v[208:211]// 000000004200: D3F300D0 1F426168
	v_mfma_f32_16x16x32_fp8_fp8 v[208:211], a[106:107], a[50:51], v[208:211]// 000000004208: D3F300D0 1F42656A
	buffer_load_dwordx4 a[172:175], v63, s[84:87], 0 offen offset:1024// 000000004210: E05C1400 8095AC3F
	v_mfma_f32_16x16x32_fp8_fp8 v[208:211], a[108:109], a[52:53], v[208:211]// 000000004218: D3F300D0 1F42696C
	v_mfma_f32_16x16x32_fp8_fp8 v[208:211], a[110:111], a[54:55], v[208:211]// 000000004220: D3F300D0 1F426D6E
	v_mfma_f32_16x16x32_fp8_fp8 v[152:155], a[80:81], a[56:57], v[152:155]// 000000004228: D3F30098 1E627150
	v_mfma_f32_16x16x32_fp8_fp8 v[152:155], a[82:83], a[58:59], v[152:155]// 000000004230: D3F30098 1E627552
	v_mfma_f32_16x16x32_fp8_fp8 v[152:155], a[84:85], a[60:61], v[152:155]// 000000004238: D3F30098 1E627954
	v_mfma_f32_16x16x32_fp8_fp8 v[152:155], a[86:87], a[62:63], v[152:155]// 000000004240: D3F30098 1E627D56
	v_mfma_f32_16x16x32_fp8_fp8 v[172:175], a[88:89], a[56:57], v[172:175]// 000000004248: D3F300AC 1EB27158
	v_mfma_f32_16x16x32_fp8_fp8 v[172:175], a[90:91], a[58:59], v[172:175]// 000000004250: D3F300AC 1EB2755A
	v_mfma_f32_16x16x32_fp8_fp8 v[172:175], a[92:93], a[60:61], v[172:175]// 000000004258: D3F300AC 1EB2795C
	v_mfma_f32_16x16x32_fp8_fp8 v[172:175], a[94:95], a[62:63], v[172:175]// 000000004260: D3F300AC 1EB27D5E
	v_mfma_f32_16x16x32_fp8_fp8 v[192:195], a[96:97], a[56:57], v[192:195]// 000000004268: D3F300C0 1F027160
	v_mfma_f32_16x16x32_fp8_fp8 v[192:195], a[98:99], a[58:59], v[192:195]// 000000004270: D3F300C0 1F027562
	v_mfma_f32_16x16x32_fp8_fp8 v[192:195], a[100:101], a[60:61], v[192:195]// 000000004278: D3F300C0 1F027964
	v_mfma_f32_16x16x32_fp8_fp8 v[192:195], a[102:103], a[62:63], v[192:195]// 000000004280: D3F300C0 1F027D66
	v_mfma_f32_16x16x32_fp8_fp8 v[212:215], a[104:105], a[56:57], v[212:215]// 000000004288: D3F300D4 1F527168
	v_mfma_f32_16x16x32_fp8_fp8 v[212:215], a[106:107], a[58:59], v[212:215]// 000000004290: D3F300D4 1F52756A
	v_mfma_f32_16x16x32_fp8_fp8 v[212:215], a[108:109], a[60:61], v[212:215]// 000000004298: D3F300D4 1F52796C
	v_mfma_f32_16x16x32_fp8_fp8 v[212:215], a[110:111], a[62:63], v[212:215]// 0000000042A0: D3F300D4 1F527D6E
	v_mfma_f32_16x16x32_fp8_fp8 v[156:159], a[80:81], a[64:65], v[156:159]// 0000000042A8: D3F3009C 1E728150
	v_mfma_f32_16x16x32_fp8_fp8 v[156:159], a[82:83], a[66:67], v[156:159]// 0000000042B0: D3F3009C 1E728552
	v_mfma_f32_16x16x32_fp8_fp8 v[156:159], a[84:85], a[68:69], v[156:159]// 0000000042B8: D3F3009C 1E728954
	v_mfma_f32_16x16x32_fp8_fp8 v[156:159], a[86:87], a[70:71], v[156:159]// 0000000042C0: D3F3009C 1E728D56
	v_mfma_f32_16x16x32_fp8_fp8 v[176:179], a[88:89], a[64:65], v[176:179]// 0000000042C8: D3F300B0 1EC28158
	v_mfma_f32_16x16x32_fp8_fp8 v[176:179], a[90:91], a[66:67], v[176:179]// 0000000042D0: D3F300B0 1EC2855A
	v_mfma_f32_16x16x32_fp8_fp8 v[176:179], a[92:93], a[68:69], v[176:179]// 0000000042D8: D3F300B0 1EC2895C
	v_mfma_f32_16x16x32_fp8_fp8 v[176:179], a[94:95], a[70:71], v[176:179]// 0000000042E0: D3F300B0 1EC28D5E
	v_mfma_f32_16x16x32_fp8_fp8 v[196:199], a[96:97], a[64:65], v[196:199]// 0000000042E8: D3F300C4 1F128160
	v_mfma_f32_16x16x32_fp8_fp8 v[196:199], a[98:99], a[66:67], v[196:199]// 0000000042F0: D3F300C4 1F128562
	v_mfma_f32_16x16x32_fp8_fp8 v[196:199], a[100:101], a[68:69], v[196:199]// 0000000042F8: D3F300C4 1F128964
	v_mfma_f32_16x16x32_fp8_fp8 v[196:199], a[102:103], a[70:71], v[196:199]// 000000004300: D3F300C4 1F128D66
	v_mfma_f32_16x16x32_fp8_fp8 v[216:219], a[104:105], a[64:65], v[216:219]// 000000004308: D3F300D8 1F628168
	v_mfma_f32_16x16x32_fp8_fp8 v[216:219], a[106:107], a[66:67], v[216:219]// 000000004310: D3F300D8 1F62856A
	v_mfma_f32_16x16x32_fp8_fp8 v[216:219], a[108:109], a[68:69], v[216:219]// 000000004318: D3F300D8 1F62896C
	v_mfma_f32_16x16x32_fp8_fp8 v[216:219], a[110:111], a[70:71], v[216:219]// 000000004320: D3F300D8 1F628D6E
	v_mfma_f32_16x16x32_fp8_fp8 v[160:163], a[80:81], a[72:73], v[160:163]// 000000004328: D3F300A0 1E829150
	v_mfma_f32_16x16x32_fp8_fp8 v[160:163], a[82:83], a[74:75], v[160:163]// 000000004330: D3F300A0 1E829552
	v_mfma_f32_16x16x32_fp8_fp8 v[160:163], a[84:85], a[76:77], v[160:163]// 000000004338: D3F300A0 1E829954
	v_mfma_f32_16x16x32_fp8_fp8 v[160:163], a[86:87], a[78:79], v[160:163]// 000000004340: D3F300A0 1E829D56
	v_mfma_f32_16x16x32_fp8_fp8 v[180:183], a[88:89], a[72:73], v[180:183]// 000000004348: D3F300B4 1ED29158
	v_mfma_f32_16x16x32_fp8_fp8 v[180:183], a[90:91], a[74:75], v[180:183]// 000000004350: D3F300B4 1ED2955A
	v_mfma_f32_16x16x32_fp8_fp8 v[180:183], a[92:93], a[76:77], v[180:183]// 000000004358: D3F300B4 1ED2995C
	v_mfma_f32_16x16x32_fp8_fp8 v[180:183], a[94:95], a[78:79], v[180:183]// 000000004360: D3F300B4 1ED29D5E
	v_mfma_f32_16x16x32_fp8_fp8 v[200:203], a[96:97], a[72:73], v[200:203]// 000000004368: D3F300C8 1F229160
	s_add_u32 s60, 0x180, s80                                  // 000000004370: 803C50FF 00000180
	s_cmp_lt_u32 s60, s81                                      // 000000004378: BF0A513C
	s_cselect_b32 s57, s57, 0                                  // 00000000437C: 85398039
	v_mfma_f32_16x16x32_fp8_fp8 v[200:203], a[98:99], a[74:75], v[200:203]// 000000004380: D3F300C8 1F229562
	s_add_u32 s60, 0x100, s80                                  // 000000004388: 803C50FF 00000100
	s_cmp_lt_u32 s60, s81                                      // 000000004390: BF0A513C
	s_cselect_b32 s58, s58, 0                                  // 000000004394: 853A803A
	v_mfma_f32_16x16x32_fp8_fp8 v[200:203], a[100:101], a[76:77], v[200:203]// 000000004398: D3F300C8 1F229964
	s_add_u32 s60, 0x100, s80                                  // 0000000043A0: 803C50FF 00000100
	s_cmp_lt_u32 s60, s81                                      // 0000000043A8: BF0A513C
	s_cselect_b32 s83, s83, 0                                  // 0000000043AC: 85538053
	v_mfma_f32_16x16x32_fp8_fp8 v[200:203], a[102:103], a[78:79], v[200:203]// 0000000043B0: D3F300C8 1F229D66
	s_add_u32 s24, s58, s24                                    // 0000000043B8: 8018183A
	s_addc_u32 s25, 0, s25                                     // 0000000043BC: 82191980
	v_mfma_f32_16x16x32_fp8_fp8 v[220:223], a[104:105], a[72:73], v[220:223]// 0000000043C0: D3F300DC 1F729168
	s_add_u32 s20, s57, s20                                    // 0000000043C8: 80141439
	s_addc_u32 s21, 0, s21                                     // 0000000043CC: 82151580
	v_mfma_f32_16x16x32_fp8_fp8 v[220:223], a[106:107], a[74:75], v[220:223]// 0000000043D0: D3F300DC 1F72956A
	s_add_u32 s84, s83, s84                                    // 0000000043D8: 80545453
	s_addc_u32 s85, 0, s85                                     // 0000000043DC: 82555580
	v_mfma_f32_16x16x32_fp8_fp8 v[220:223], a[108:109], a[76:77], v[220:223]// 0000000043E0: D3F300DC 1F72996C
	v_mfma_f32_16x16x32_fp8_fp8 v[220:223], a[110:111], a[78:79], v[220:223]// 0000000043E8: D3F300DC 1F729D6E
	s_addk_i32 s80, 0x80                                       // 0000000043F0: B7500080
	s_cmp_lt_i32 s80, s81                                      // 0000000043F4: BF045150
	s_cbranch_scc0 label_0D4C                                  // 0000000043F8: BF8406CD
	s_waitcnt vmcnt(18) lgkmcnt(0)                             // 0000000043FC: BF8C4072
	v_mfma_f32_16x16x32_fp8_fp8 v[64:67], a[112:113], a[0:1], v[64:67]// 000000004400: D3F30040 1D020170
	v_mfma_f32_16x16x32_fp8_fp8 v[64:67], a[114:115], a[2:3], v[64:67]// 000000004408: D3F30040 1D020572
	buffer_load_dwordx4 a[80:83], v60, s[24:27], 0 offen       // 000000004410: E05C1000 8086503C
	v_mfma_f32_16x16x32_fp8_fp8 v[64:67], a[116:117], a[4:5], v[64:67]// 000000004418: D3F30040 1D020974
	v_mfma_f32_16x16x32_fp8_fp8 v[64:67], a[118:119], a[6:7], v[64:67]// 000000004420: D3F30040 1D020D76
	v_mfma_f32_16x16x32_fp8_fp8 v[84:87], a[120:121], a[0:1], v[84:87]// 000000004428: D3F30054 1D520178
	v_mfma_f32_16x16x32_fp8_fp8 v[84:87], a[122:123], a[2:3], v[84:87]// 000000004430: D3F30054 1D52057A
	buffer_load_dwordx4 a[84:87], v60, s[24:27], 0 offen offset:1024// 000000004438: E05C1400 8086543C
	v_mfma_f32_16x16x32_fp8_fp8 v[84:87], a[124:125], a[4:5], v[84:87]// 000000004440: D3F30054 1D52097C
	v_mfma_f32_16x16x32_fp8_fp8 v[84:87], a[126:127], a[6:7], v[84:87]// 000000004448: D3F30054 1D520D7E
	v_mfma_f32_16x16x32_fp8_fp8 v[104:107], a[128:129], a[0:1], v[104:107]// 000000004450: D3F30068 1DA20180
	v_mfma_f32_16x16x32_fp8_fp8 v[104:107], a[130:131], a[2:3], v[104:107]// 000000004458: D3F30068 1DA20582
	buffer_load_dwordx4 a[88:91], v61, s[24:27], 0 offen       // 000000004460: E05C1000 8086583D
	v_mfma_f32_16x16x32_fp8_fp8 v[104:107], a[132:133], a[4:5], v[104:107]// 000000004468: D3F30068 1DA20984
	v_mfma_f32_16x16x32_fp8_fp8 v[104:107], a[134:135], a[6:7], v[104:107]// 000000004470: D3F30068 1DA20D86
	v_mfma_f32_16x16x32_fp8_fp8 v[124:127], a[136:137], a[0:1], v[124:127]// 000000004478: D3F3007C 1DF20188
	v_mfma_f32_16x16x32_fp8_fp8 v[124:127], a[138:139], a[2:3], v[124:127]// 000000004480: D3F3007C 1DF2058A
	buffer_load_dwordx4 a[92:95], v61, s[24:27], 0 offen offset:1024// 000000004488: E05C1400 80865C3D
	v_mfma_f32_16x16x32_fp8_fp8 v[124:127], a[140:141], a[4:5], v[124:127]// 000000004490: D3F3007C 1DF2098C
	v_mfma_f32_16x16x32_fp8_fp8 v[124:127], a[142:143], a[6:7], v[124:127]// 000000004498: D3F3007C 1DF20D8E
	v_mfma_f32_16x16x32_fp8_fp8 v[68:71], a[112:113], a[8:9], v[68:71]// 0000000044A0: D3F30044 1D121170
	v_mfma_f32_16x16x32_fp8_fp8 v[68:71], a[114:115], a[10:11], v[68:71]// 0000000044A8: D3F30044 1D121572
	buffer_load_dwordx4 a[96:99], v62, s[24:27], 0 offen       // 0000000044B0: E05C1000 8086603E
	v_mfma_f32_16x16x32_fp8_fp8 v[68:71], a[116:117], a[12:13], v[68:71]// 0000000044B8: D3F30044 1D121974
	v_mfma_f32_16x16x32_fp8_fp8 v[68:71], a[118:119], a[14:15], v[68:71]// 0000000044C0: D3F30044 1D121D76
	v_mfma_f32_16x16x32_fp8_fp8 v[88:91], a[120:121], a[8:9], v[88:91]// 0000000044C8: D3F30058 1D621178
	v_mfma_f32_16x16x32_fp8_fp8 v[88:91], a[122:123], a[10:11], v[88:91]// 0000000044D0: D3F30058 1D62157A
	buffer_load_dwordx4 a[100:103], v62, s[24:27], 0 offen offset:1024// 0000000044D8: E05C1400 8086643E
	v_mfma_f32_16x16x32_fp8_fp8 v[88:91], a[124:125], a[12:13], v[88:91]// 0000000044E0: D3F30058 1D62197C
	v_mfma_f32_16x16x32_fp8_fp8 v[88:91], a[126:127], a[14:15], v[88:91]// 0000000044E8: D3F30058 1D621D7E
	v_mfma_f32_16x16x32_fp8_fp8 v[108:111], a[128:129], a[8:9], v[108:111]// 0000000044F0: D3F3006C 1DB21180
	v_mfma_f32_16x16x32_fp8_fp8 v[108:111], a[130:131], a[10:11], v[108:111]// 0000000044F8: D3F3006C 1DB21582
	buffer_load_dwordx4 a[104:107], v63, s[24:27], 0 offen     // 000000004500: E05C1000 8086683F
	v_mfma_f32_16x16x32_fp8_fp8 v[108:111], a[132:133], a[12:13], v[108:111]// 000000004508: D3F3006C 1DB21984
	v_mfma_f32_16x16x32_fp8_fp8 v[108:111], a[134:135], a[14:15], v[108:111]// 000000004510: D3F3006C 1DB21D86
	v_mfma_f32_16x16x32_fp8_fp8 v[128:131], a[136:137], a[8:9], v[128:131]// 000000004518: D3F30080 1E021188
	v_mfma_f32_16x16x32_fp8_fp8 v[128:131], a[138:139], a[10:11], v[128:131]// 000000004520: D3F30080 1E02158A
	buffer_load_dwordx4 a[108:111], v63, s[24:27], 0 offen offset:1024// 000000004528: E05C1400 80866C3F
	buffer_load_dword v50, s[20:23], 0 offen lds               // 000000004530: E0511000 80050032
	s_add_u32 m0, 0x100, s49                                   // 000000004538: 807C31FF 00000100
	v_mfma_f32_16x16x32_fp8_fp8 v[128:131], a[140:141], a[12:13], v[128:131]// 000000004540: D3F30080 1E02198C
	v_mfma_f32_16x16x32_fp8_fp8 v[128:131], a[142:143], a[14:15], v[128:131]// 000000004548: D3F30080 1E021D8E
	buffer_load_dword v51, s[20:23], 0 offen lds               // 000000004550: E0511000 80050033
	s_add_u32 m0, 0x200, s49                                   // 000000004558: 807C31FF 00000200
	v_mfma_f32_16x16x32_fp8_fp8 v[72:75], a[112:113], a[16:17], v[72:75]// 000000004560: D3F30048 1D222170
	v_mfma_f32_16x16x32_fp8_fp8 v[72:75], a[114:115], a[18:19], v[72:75]// 000000004568: D3F30048 1D222572
	buffer_load_dword v52, s[20:23], 0 offen lds               // 000000004570: E0511000 80050034
	s_add_u32 m0, 0x300, s49                                   // 000000004578: 807C31FF 00000300
	v_mfma_f32_16x16x32_fp8_fp8 v[72:75], a[116:117], a[20:21], v[72:75]// 000000004580: D3F30048 1D222974
	v_mfma_f32_16x16x32_fp8_fp8 v[72:75], a[118:119], a[22:23], v[72:75]// 000000004588: D3F30048 1D222D76
	buffer_load_dword v53, s[20:23], 0 offen lds               // 000000004590: E0511000 80050035
	s_add_u32 m0, 0x400, s49                                   // 000000004598: 807C31FF 00000400
	v_mfma_f32_16x16x32_fp8_fp8 v[92:95], a[120:121], a[16:17], v[92:95]// 0000000045A0: D3F3005C 1D722178
	v_mfma_f32_16x16x32_fp8_fp8 v[92:95], a[122:123], a[18:19], v[92:95]// 0000000045A8: D3F3005C 1D72257A
	buffer_load_dword v54, s[20:23], 0 offen lds               // 0000000045B0: E0511000 80050036
	s_add_u32 m0, 0x500, s49                                   // 0000000045B8: 807C31FF 00000500
	v_mfma_f32_16x16x32_fp8_fp8 v[92:95], a[124:125], a[20:21], v[92:95]// 0000000045C0: D3F3005C 1D72297C
	v_mfma_f32_16x16x32_fp8_fp8 v[92:95], a[126:127], a[22:23], v[92:95]// 0000000045C8: D3F3005C 1D722D7E
	buffer_load_dword v55, s[20:23], 0 offen lds               // 0000000045D0: E0511000 80050037
	s_add_u32 m0, 0x600, s49                                   // 0000000045D8: 807C31FF 00000600
	v_mfma_f32_16x16x32_fp8_fp8 v[112:115], a[128:129], a[16:17], v[112:115]// 0000000045E0: D3F30070 1DC22180
	v_mfma_f32_16x16x32_fp8_fp8 v[112:115], a[130:131], a[18:19], v[112:115]// 0000000045E8: D3F30070 1DC22582
	buffer_load_dword v56, s[20:23], 0 offen lds               // 0000000045F0: E0511000 80050038
	s_add_u32 m0, 0x700, s49                                   // 0000000045F8: 807C31FF 00000700
	v_mfma_f32_16x16x32_fp8_fp8 v[112:115], a[132:133], a[20:21], v[112:115]// 000000004600: D3F30070 1DC22984
	v_mfma_f32_16x16x32_fp8_fp8 v[112:115], a[134:135], a[22:23], v[112:115]// 000000004608: D3F30070 1DC22D86
	buffer_load_dword v57, s[20:23], 0 offen lds               // 000000004610: E0511000 80050039
	s_add_u32 m0, 0x800, s49                                   // 000000004618: 807C31FF 00000800
	v_mfma_f32_16x16x32_fp8_fp8 v[132:135], a[136:137], a[16:17], v[132:135]// 000000004620: D3F30084 1E122188
	v_mfma_f32_16x16x32_fp8_fp8 v[132:135], a[138:139], a[18:19], v[132:135]// 000000004628: D3F30084 1E12258A
	buffer_load_dword v58, s[20:23], 0 offen lds               // 000000004630: E0511000 8005003A
	s_add_u32 m0, 0x900, s49                                   // 000000004638: 807C31FF 00000900
	v_mfma_f32_16x16x32_fp8_fp8 v[132:135], a[140:141], a[20:21], v[132:135]// 000000004640: D3F30084 1E12298C
	v_mfma_f32_16x16x32_fp8_fp8 v[132:135], a[142:143], a[22:23], v[132:135]// 000000004648: D3F30084 1E122D8E
	buffer_load_dword v59, s[20:23], 0 offen lds               // 000000004650: E0511000 8005003B
	s_add_u32 m0, 0, s50                                       // 000000004658: 807C3280
	v_mfma_f32_16x16x32_fp8_fp8 v[76:79], a[112:113], a[24:25], v[76:79]// 00000000465C: D3F3004C 1D323170
	v_mfma_f32_16x16x32_fp8_fp8 v[76:79], a[114:115], a[26:27], v[76:79]// 000000004664: D3F3004C 1D323572
	v_mfma_f32_16x16x32_fp8_fp8 v[76:79], a[116:117], a[28:29], v[76:79]// 00000000466C: D3F3004C 1D323974
	v_mfma_f32_16x16x32_fp8_fp8 v[76:79], a[118:119], a[30:31], v[76:79]// 000000004674: D3F3004C 1D323D76
	v_mfma_f32_16x16x32_fp8_fp8 v[96:99], a[120:121], a[24:25], v[96:99]// 00000000467C: D3F30060 1D823178
	v_mfma_f32_16x16x32_fp8_fp8 v[96:99], a[122:123], a[26:27], v[96:99]// 000000004684: D3F30060 1D82357A
	v_mfma_f32_16x16x32_fp8_fp8 v[96:99], a[124:125], a[28:29], v[96:99]// 00000000468C: D3F30060 1D82397C
	v_mfma_f32_16x16x32_fp8_fp8 v[96:99], a[126:127], a[30:31], v[96:99]// 000000004694: D3F30060 1D823D7E
	v_mfma_f32_16x16x32_fp8_fp8 v[116:119], a[128:129], a[24:25], v[116:119]// 00000000469C: D3F30074 1DD23180
	v_mfma_f32_16x16x32_fp8_fp8 v[116:119], a[130:131], a[26:27], v[116:119]// 0000000046A4: D3F30074 1DD23582
	v_mfma_f32_16x16x32_fp8_fp8 v[116:119], a[132:133], a[28:29], v[116:119]// 0000000046AC: D3F30074 1DD23984
	v_mfma_f32_16x16x32_fp8_fp8 v[116:119], a[134:135], a[30:31], v[116:119]// 0000000046B4: D3F30074 1DD23D86
	v_mfma_f32_16x16x32_fp8_fp8 v[136:139], a[136:137], a[24:25], v[136:139]// 0000000046BC: D3F30088 1E223188
	v_mfma_f32_16x16x32_fp8_fp8 v[136:139], a[138:139], a[26:27], v[136:139]// 0000000046C4: D3F30088 1E22358A
	v_mfma_f32_16x16x32_fp8_fp8 v[136:139], a[140:141], a[28:29], v[136:139]// 0000000046CC: D3F30088 1E22398C
	v_mfma_f32_16x16x32_fp8_fp8 v[136:139], a[142:143], a[30:31], v[136:139]// 0000000046D4: D3F30088 1E223D8E
	v_mfma_f32_16x16x32_fp8_fp8 v[80:83], a[112:113], a[32:33], v[80:83]// 0000000046DC: D3F30050 1D424170
	v_mfma_f32_16x16x32_fp8_fp8 v[80:83], a[114:115], a[34:35], v[80:83]// 0000000046E4: D3F30050 1D424572
	v_mfma_f32_16x16x32_fp8_fp8 v[80:83], a[116:117], a[36:37], v[80:83]// 0000000046EC: D3F30050 1D424974
	v_mfma_f32_16x16x32_fp8_fp8 v[80:83], a[118:119], a[38:39], v[80:83]// 0000000046F4: D3F30050 1D424D76
	v_mfma_f32_16x16x32_fp8_fp8 v[100:103], a[120:121], a[32:33], v[100:103]// 0000000046FC: D3F30064 1D924178
	v_mfma_f32_16x16x32_fp8_fp8 v[100:103], a[122:123], a[34:35], v[100:103]// 000000004704: D3F30064 1D92457A
	v_mfma_f32_16x16x32_fp8_fp8 v[100:103], a[124:125], a[36:37], v[100:103]// 00000000470C: D3F30064 1D92497C
	v_mfma_f32_16x16x32_fp8_fp8 v[100:103], a[126:127], a[38:39], v[100:103]// 000000004714: D3F30064 1D924D7E
	v_mfma_f32_16x16x32_fp8_fp8 v[120:123], a[128:129], a[32:33], v[120:123]// 00000000471C: D3F30078 1DE24180
	v_mfma_f32_16x16x32_fp8_fp8 v[120:123], a[130:131], a[34:35], v[120:123]// 000000004724: D3F30078 1DE24582
	v_mfma_f32_16x16x32_fp8_fp8 v[120:123], a[132:133], a[36:37], v[120:123]// 00000000472C: D3F30078 1DE24984
	v_mfma_f32_16x16x32_fp8_fp8 v[120:123], a[134:135], a[38:39], v[120:123]// 000000004734: D3F30078 1DE24D86
	v_mfma_f32_16x16x32_fp8_fp8 v[140:143], a[136:137], a[32:33], v[140:143]// 00000000473C: D3F3008C 1E324188
	v_mfma_f32_16x16x32_fp8_fp8 v[140:143], a[138:139], a[34:35], v[140:143]// 000000004744: D3F3008C 1E32458A
	v_mfma_f32_16x16x32_fp8_fp8 v[140:143], a[140:141], a[36:37], v[140:143]// 00000000474C: D3F3008C 1E32498C
	v_mfma_f32_16x16x32_fp8_fp8 v[140:143], a[142:143], a[38:39], v[140:143]// 000000004754: D3F3008C 1E324D8E
	s_waitcnt vmcnt(18)                                        // 00000000475C: BF8C4F72
	s_barrier                                                  // 000000004760: BF8A0000
	v_mfma_f32_16x16x32_fp8_fp8 v[144:147], a[144:145], a[0:1], v[144:147]// 000000004764: D3F30090 1E420190
	v_mfma_f32_16x16x32_fp8_fp8 v[144:147], a[146:147], a[2:3], v[144:147]// 00000000476C: D3F30090 1E420592
	buffer_load_dwordx4 a[112:115], v60, s[84:87], 0 offen     // 000000004774: E05C1000 8095703C
	v_mfma_f32_16x16x32_fp8_fp8 v[144:147], a[148:149], a[4:5], v[144:147]// 00000000477C: D3F30090 1E420994
	v_mfma_f32_16x16x32_fp8_fp8 v[144:147], a[150:151], a[6:7], v[144:147]// 000000004784: D3F30090 1E420D96
	ds_read_b128 a[40:43], v2                                  // 00000000478C: DBFE0000 28000002
	ds_read_b128 a[44:47], v2 offset:64                        // 000000004794: DBFE0040 2C000002
	v_mfma_f32_16x16x32_fp8_fp8 v[164:167], a[152:153], a[0:1], v[164:167]// 00000000479C: D3F300A4 1E920198
	v_mfma_f32_16x16x32_fp8_fp8 v[164:167], a[154:155], a[2:3], v[164:167]// 0000000047A4: D3F300A4 1E92059A
	buffer_load_dwordx4 a[116:119], v60, s[84:87], 0 offen offset:1024// 0000000047AC: E05C1400 8095743C
	v_mfma_f32_16x16x32_fp8_fp8 v[164:167], a[156:157], a[4:5], v[164:167]// 0000000047B4: D3F300A4 1E92099C
	v_mfma_f32_16x16x32_fp8_fp8 v[164:167], a[158:159], a[6:7], v[164:167]// 0000000047BC: D3F300A4 1E920D9E
	ds_read_b128 a[48:51], v2 offset:512                       // 0000000047C4: DBFE0200 30000002
	ds_read_b128 a[52:55], v2 offset:576                       // 0000000047CC: DBFE0240 34000002
	v_mfma_f32_16x16x32_fp8_fp8 v[184:187], a[160:161], a[0:1], v[184:187]// 0000000047D4: D3F300B8 1EE201A0
	v_mfma_f32_16x16x32_fp8_fp8 v[184:187], a[162:163], a[2:3], v[184:187]// 0000000047DC: D3F300B8 1EE205A2
	buffer_load_dwordx4 a[120:123], v61, s[84:87], 0 offen     // 0000000047E4: E05C1000 8095783D
	v_mfma_f32_16x16x32_fp8_fp8 v[184:187], a[164:165], a[4:5], v[184:187]// 0000000047EC: D3F300B8 1EE209A4
	v_mfma_f32_16x16x32_fp8_fp8 v[184:187], a[166:167], a[6:7], v[184:187]// 0000000047F4: D3F300B8 1EE20DA6
	ds_read_b128 a[56:59], v2 offset:1024                      // 0000000047FC: DBFE0400 38000002
	ds_read_b128 a[60:63], v2 offset:1088                      // 000000004804: DBFE0440 3C000002
	v_mfma_f32_16x16x32_fp8_fp8 v[204:207], a[168:169], a[0:1], v[204:207]// 00000000480C: D3F300CC 1F3201A8
	v_mfma_f32_16x16x32_fp8_fp8 v[204:207], a[170:171], a[2:3], v[204:207]// 000000004814: D3F300CC 1F3205AA
	buffer_load_dwordx4 a[124:127], v61, s[84:87], 0 offen offset:1024// 00000000481C: E05C1400 80957C3D
	v_mfma_f32_16x16x32_fp8_fp8 v[204:207], a[172:173], a[4:5], v[204:207]// 000000004824: D3F300CC 1F3209AC
	v_mfma_f32_16x16x32_fp8_fp8 v[204:207], a[174:175], a[6:7], v[204:207]// 00000000482C: D3F300CC 1F320DAE
	ds_read_b128 a[64:67], v2 offset:1536                      // 000000004834: DBFE0600 40000002
	ds_read_b128 a[68:71], v2 offset:1600                      // 00000000483C: DBFE0640 44000002
	v_mfma_f32_16x16x32_fp8_fp8 v[148:151], a[144:145], a[8:9], v[148:151]// 000000004844: D3F30094 1E521190
	v_mfma_f32_16x16x32_fp8_fp8 v[148:151], a[146:147], a[10:11], v[148:151]// 00000000484C: D3F30094 1E521592
	buffer_load_dwordx4 a[128:131], v62, s[84:87], 0 offen     // 000000004854: E05C1000 8095803E
	v_mfma_f32_16x16x32_fp8_fp8 v[148:151], a[148:149], a[12:13], v[148:151]// 00000000485C: D3F30094 1E521994
	v_mfma_f32_16x16x32_fp8_fp8 v[148:151], a[150:151], a[14:15], v[148:151]// 000000004864: D3F30094 1E521D96
	ds_read_b128 a[72:75], v2 offset:2048                      // 00000000486C: DBFE0800 48000002
	ds_read_b128 a[76:79], v2 offset:2112                      // 000000004874: DBFE0840 4C000002
	v_mfma_f32_16x16x32_fp8_fp8 v[168:171], a[152:153], a[8:9], v[168:171]// 00000000487C: D3F300A8 1EA21198
	v_mfma_f32_16x16x32_fp8_fp8 v[168:171], a[154:155], a[10:11], v[168:171]// 000000004884: D3F300A8 1EA2159A
	buffer_load_dwordx4 a[132:135], v62, s[84:87], 0 offen offset:1024// 00000000488C: E05C1400 8095843E
	v_mfma_f32_16x16x32_fp8_fp8 v[168:171], a[156:157], a[12:13], v[168:171]// 000000004894: D3F300A8 1EA2199C
	v_mfma_f32_16x16x32_fp8_fp8 v[168:171], a[158:159], a[14:15], v[168:171]// 00000000489C: D3F300A8 1EA21D9E
	v_mfma_f32_16x16x32_fp8_fp8 v[188:191], a[160:161], a[8:9], v[188:191]// 0000000048A4: D3F300BC 1EF211A0
	v_mfma_f32_16x16x32_fp8_fp8 v[188:191], a[162:163], a[10:11], v[188:191]// 0000000048AC: D3F300BC 1EF215A2
	buffer_load_dwordx4 a[136:139], v63, s[84:87], 0 offen     // 0000000048B4: E05C1000 8095883F
	v_mfma_f32_16x16x32_fp8_fp8 v[188:191], a[164:165], a[12:13], v[188:191]// 0000000048BC: D3F300BC 1EF219A4
	v_mfma_f32_16x16x32_fp8_fp8 v[188:191], a[166:167], a[14:15], v[188:191]// 0000000048C4: D3F300BC 1EF21DA6
	v_mfma_f32_16x16x32_fp8_fp8 v[208:211], a[168:169], a[8:9], v[208:211]// 0000000048CC: D3F300D0 1F4211A8
	v_mfma_f32_16x16x32_fp8_fp8 v[208:211], a[170:171], a[10:11], v[208:211]// 0000000048D4: D3F300D0 1F4215AA
	buffer_load_dwordx4 a[140:143], v63, s[84:87], 0 offen offset:1024// 0000000048DC: E05C1400 80958C3F
	v_mfma_f32_16x16x32_fp8_fp8 v[208:211], a[172:173], a[12:13], v[208:211]// 0000000048E4: D3F300D0 1F4219AC
	v_mfma_f32_16x16x32_fp8_fp8 v[208:211], a[174:175], a[14:15], v[208:211]// 0000000048EC: D3F300D0 1F421DAE
	v_mfma_f32_16x16x32_fp8_fp8 v[152:155], a[144:145], a[16:17], v[152:155]// 0000000048F4: D3F30098 1E622190
	v_mfma_f32_16x16x32_fp8_fp8 v[152:155], a[146:147], a[18:19], v[152:155]// 0000000048FC: D3F30098 1E622592
	v_mfma_f32_16x16x32_fp8_fp8 v[152:155], a[148:149], a[20:21], v[152:155]// 000000004904: D3F30098 1E622994
	v_mfma_f32_16x16x32_fp8_fp8 v[152:155], a[150:151], a[22:23], v[152:155]// 00000000490C: D3F30098 1E622D96
	v_mfma_f32_16x16x32_fp8_fp8 v[172:175], a[152:153], a[16:17], v[172:175]// 000000004914: D3F300AC 1EB22198
	v_mfma_f32_16x16x32_fp8_fp8 v[172:175], a[154:155], a[18:19], v[172:175]// 00000000491C: D3F300AC 1EB2259A
	v_mfma_f32_16x16x32_fp8_fp8 v[172:175], a[156:157], a[20:21], v[172:175]// 000000004924: D3F300AC 1EB2299C
	v_mfma_f32_16x16x32_fp8_fp8 v[172:175], a[158:159], a[22:23], v[172:175]// 00000000492C: D3F300AC 1EB22D9E
	v_mfma_f32_16x16x32_fp8_fp8 v[192:195], a[160:161], a[16:17], v[192:195]// 000000004934: D3F300C0 1F0221A0
	v_mfma_f32_16x16x32_fp8_fp8 v[192:195], a[162:163], a[18:19], v[192:195]// 00000000493C: D3F300C0 1F0225A2
	v_mfma_f32_16x16x32_fp8_fp8 v[192:195], a[164:165], a[20:21], v[192:195]// 000000004944: D3F300C0 1F0229A4
	v_mfma_f32_16x16x32_fp8_fp8 v[192:195], a[166:167], a[22:23], v[192:195]// 00000000494C: D3F300C0 1F022DA6
	v_mfma_f32_16x16x32_fp8_fp8 v[212:215], a[168:169], a[16:17], v[212:215]// 000000004954: D3F300D4 1F5221A8
	v_mfma_f32_16x16x32_fp8_fp8 v[212:215], a[170:171], a[18:19], v[212:215]// 00000000495C: D3F300D4 1F5225AA
	v_mfma_f32_16x16x32_fp8_fp8 v[212:215], a[172:173], a[20:21], v[212:215]// 000000004964: D3F300D4 1F5229AC
	v_mfma_f32_16x16x32_fp8_fp8 v[212:215], a[174:175], a[22:23], v[212:215]// 00000000496C: D3F300D4 1F522DAE
	v_mfma_f32_16x16x32_fp8_fp8 v[156:159], a[144:145], a[24:25], v[156:159]// 000000004974: D3F3009C 1E723190
	v_mfma_f32_16x16x32_fp8_fp8 v[156:159], a[146:147], a[26:27], v[156:159]// 00000000497C: D3F3009C 1E723592
	v_mfma_f32_16x16x32_fp8_fp8 v[156:159], a[148:149], a[28:29], v[156:159]// 000000004984: D3F3009C 1E723994
	v_mfma_f32_16x16x32_fp8_fp8 v[156:159], a[150:151], a[30:31], v[156:159]// 00000000498C: D3F3009C 1E723D96
	v_mfma_f32_16x16x32_fp8_fp8 v[176:179], a[152:153], a[24:25], v[176:179]// 000000004994: D3F300B0 1EC23198
	v_mfma_f32_16x16x32_fp8_fp8 v[176:179], a[154:155], a[26:27], v[176:179]// 00000000499C: D3F300B0 1EC2359A
	v_mfma_f32_16x16x32_fp8_fp8 v[176:179], a[156:157], a[28:29], v[176:179]// 0000000049A4: D3F300B0 1EC2399C
	v_mfma_f32_16x16x32_fp8_fp8 v[176:179], a[158:159], a[30:31], v[176:179]// 0000000049AC: D3F300B0 1EC23D9E
	v_mfma_f32_16x16x32_fp8_fp8 v[196:199], a[160:161], a[24:25], v[196:199]// 0000000049B4: D3F300C4 1F1231A0
	v_mfma_f32_16x16x32_fp8_fp8 v[196:199], a[162:163], a[26:27], v[196:199]// 0000000049BC: D3F300C4 1F1235A2
	v_mfma_f32_16x16x32_fp8_fp8 v[196:199], a[164:165], a[28:29], v[196:199]// 0000000049C4: D3F300C4 1F1239A4
	v_mfma_f32_16x16x32_fp8_fp8 v[196:199], a[166:167], a[30:31], v[196:199]// 0000000049CC: D3F300C4 1F123DA6
	v_mfma_f32_16x16x32_fp8_fp8 v[216:219], a[168:169], a[24:25], v[216:219]// 0000000049D4: D3F300D8 1F6231A8
	v_mfma_f32_16x16x32_fp8_fp8 v[216:219], a[170:171], a[26:27], v[216:219]// 0000000049DC: D3F300D8 1F6235AA
	v_mfma_f32_16x16x32_fp8_fp8 v[216:219], a[172:173], a[28:29], v[216:219]// 0000000049E4: D3F300D8 1F6239AC
	v_mfma_f32_16x16x32_fp8_fp8 v[216:219], a[174:175], a[30:31], v[216:219]// 0000000049EC: D3F300D8 1F623DAE
	v_mfma_f32_16x16x32_fp8_fp8 v[160:163], a[144:145], a[32:33], v[160:163]// 0000000049F4: D3F300A0 1E824190
	v_mfma_f32_16x16x32_fp8_fp8 v[160:163], a[146:147], a[34:35], v[160:163]// 0000000049FC: D3F300A0 1E824592
	v_mfma_f32_16x16x32_fp8_fp8 v[160:163], a[148:149], a[36:37], v[160:163]// 000000004A04: D3F300A0 1E824994
	v_mfma_f32_16x16x32_fp8_fp8 v[160:163], a[150:151], a[38:39], v[160:163]// 000000004A0C: D3F300A0 1E824D96
	v_mfma_f32_16x16x32_fp8_fp8 v[180:183], a[152:153], a[32:33], v[180:183]// 000000004A14: D3F300B4 1ED24198
	v_mfma_f32_16x16x32_fp8_fp8 v[180:183], a[154:155], a[34:35], v[180:183]// 000000004A1C: D3F300B4 1ED2459A
	v_mfma_f32_16x16x32_fp8_fp8 v[180:183], a[156:157], a[36:37], v[180:183]// 000000004A24: D3F300B4 1ED2499C
	v_mfma_f32_16x16x32_fp8_fp8 v[180:183], a[158:159], a[38:39], v[180:183]// 000000004A2C: D3F300B4 1ED24D9E
	v_mfma_f32_16x16x32_fp8_fp8 v[200:203], a[160:161], a[32:33], v[200:203]// 000000004A34: D3F300C8 1F2241A0
	s_add_u32 s60, 0x180, s80                                  // 000000004A3C: 803C50FF 00000180
	s_cmp_lt_u32 s60, s81                                      // 000000004A44: BF0A513C
	s_cselect_b32 s57, s57, 0                                  // 000000004A48: 85398039
	v_mfma_f32_16x16x32_fp8_fp8 v[200:203], a[162:163], a[34:35], v[200:203]// 000000004A4C: D3F300C8 1F2245A2
	s_add_u32 s60, 0x100, s80                                  // 000000004A54: 803C50FF 00000100
	s_cmp_lt_u32 s60, s81                                      // 000000004A5C: BF0A513C
	s_cselect_b32 s58, s58, 0                                  // 000000004A60: 853A803A
	v_mfma_f32_16x16x32_fp8_fp8 v[200:203], a[164:165], a[36:37], v[200:203]// 000000004A64: D3F300C8 1F2249A4
	s_add_u32 s60, 0x100, s80                                  // 000000004A6C: 803C50FF 00000100
	s_cmp_lt_u32 s60, s81                                      // 000000004A74: BF0A513C
	s_cselect_b32 s83, s83, 0                                  // 000000004A78: 85538053
	v_mfma_f32_16x16x32_fp8_fp8 v[200:203], a[166:167], a[38:39], v[200:203]// 000000004A7C: D3F300C8 1F224DA6
	s_add_u32 s24, s58, s24                                    // 000000004A84: 8018183A
	s_addc_u32 s25, 0, s25                                     // 000000004A88: 82191980
	v_mfma_f32_16x16x32_fp8_fp8 v[220:223], a[168:169], a[32:33], v[220:223]// 000000004A8C: D3F300DC 1F7241A8
	s_add_u32 s20, s57, s20                                    // 000000004A94: 80141439
	s_addc_u32 s21, 0, s21                                     // 000000004A98: 82151580
	v_mfma_f32_16x16x32_fp8_fp8 v[220:223], a[170:171], a[34:35], v[220:223]// 000000004A9C: D3F300DC 1F7245AA
	s_add_u32 s84, s83, s84                                    // 000000004AA4: 80545453
	s_addc_u32 s85, 0, s85                                     // 000000004AA8: 82555580
	v_mfma_f32_16x16x32_fp8_fp8 v[220:223], a[172:173], a[36:37], v[220:223]// 000000004AAC: D3F300DC 1F7249AC
	v_mfma_f32_16x16x32_fp8_fp8 v[220:223], a[174:175], a[38:39], v[220:223]// 000000004AB4: D3F300DC 1F724DAE
	s_addk_i32 s80, 0x80                                       // 000000004ABC: B7500080
	s_cmp_lt_i32 s80, s81                                      // 000000004AC0: BF045150
	s_cbranch_scc0 label_0D4C                                  // 000000004AC4: BF84051A
	s_waitcnt vmcnt(18) lgkmcnt(0)                             // 000000004AC8: BF8C4072
	v_mfma_f32_16x16x32_fp8_fp8 v[64:67], a[80:81], a[40:41], v[64:67]// 000000004ACC: D3F30040 1D025150
	v_mfma_f32_16x16x32_fp8_fp8 v[64:67], a[82:83], a[42:43], v[64:67]// 000000004AD4: D3F30040 1D025552
	buffer_load_dwordx4 a[144:147], v60, s[24:27], 0 offen     // 000000004ADC: E05C1000 8086903C
	v_mfma_f32_16x16x32_fp8_fp8 v[64:67], a[84:85], a[44:45], v[64:67]// 000000004AE4: D3F30040 1D025954
	v_mfma_f32_16x16x32_fp8_fp8 v[64:67], a[86:87], a[46:47], v[64:67]// 000000004AEC: D3F30040 1D025D56
	v_mfma_f32_16x16x32_fp8_fp8 v[84:87], a[88:89], a[40:41], v[84:87]// 000000004AF4: D3F30054 1D525158
	v_mfma_f32_16x16x32_fp8_fp8 v[84:87], a[90:91], a[42:43], v[84:87]// 000000004AFC: D3F30054 1D52555A
	buffer_load_dwordx4 a[148:151], v60, s[24:27], 0 offen offset:1024// 000000004B04: E05C1400 8086943C
	v_mfma_f32_16x16x32_fp8_fp8 v[84:87], a[92:93], a[44:45], v[84:87]// 000000004B0C: D3F30054 1D52595C
	v_mfma_f32_16x16x32_fp8_fp8 v[84:87], a[94:95], a[46:47], v[84:87]// 000000004B14: D3F30054 1D525D5E
	v_mfma_f32_16x16x32_fp8_fp8 v[104:107], a[96:97], a[40:41], v[104:107]// 000000004B1C: D3F30068 1DA25160
	v_mfma_f32_16x16x32_fp8_fp8 v[104:107], a[98:99], a[42:43], v[104:107]// 000000004B24: D3F30068 1DA25562
	buffer_load_dwordx4 a[152:155], v61, s[24:27], 0 offen     // 000000004B2C: E05C1000 8086983D
	v_mfma_f32_16x16x32_fp8_fp8 v[104:107], a[100:101], a[44:45], v[104:107]// 000000004B34: D3F30068 1DA25964
	v_mfma_f32_16x16x32_fp8_fp8 v[104:107], a[102:103], a[46:47], v[104:107]// 000000004B3C: D3F30068 1DA25D66
	v_mfma_f32_16x16x32_fp8_fp8 v[124:127], a[104:105], a[40:41], v[124:127]// 000000004B44: D3F3007C 1DF25168
	v_mfma_f32_16x16x32_fp8_fp8 v[124:127], a[106:107], a[42:43], v[124:127]// 000000004B4C: D3F3007C 1DF2556A
	buffer_load_dwordx4 a[156:159], v61, s[24:27], 0 offen offset:1024// 000000004B54: E05C1400 80869C3D
	v_mfma_f32_16x16x32_fp8_fp8 v[124:127], a[108:109], a[44:45], v[124:127]// 000000004B5C: D3F3007C 1DF2596C
	v_mfma_f32_16x16x32_fp8_fp8 v[124:127], a[110:111], a[46:47], v[124:127]// 000000004B64: D3F3007C 1DF25D6E
	v_mfma_f32_16x16x32_fp8_fp8 v[68:71], a[80:81], a[48:49], v[68:71]// 000000004B6C: D3F30044 1D126150
	v_mfma_f32_16x16x32_fp8_fp8 v[68:71], a[82:83], a[50:51], v[68:71]// 000000004B74: D3F30044 1D126552
	buffer_load_dwordx4 a[160:163], v62, s[24:27], 0 offen     // 000000004B7C: E05C1000 8086A03E
	v_mfma_f32_16x16x32_fp8_fp8 v[68:71], a[84:85], a[52:53], v[68:71]// 000000004B84: D3F30044 1D126954
	v_mfma_f32_16x16x32_fp8_fp8 v[68:71], a[86:87], a[54:55], v[68:71]// 000000004B8C: D3F30044 1D126D56
	v_mfma_f32_16x16x32_fp8_fp8 v[88:91], a[88:89], a[48:49], v[88:91]// 000000004B94: D3F30058 1D626158
	v_mfma_f32_16x16x32_fp8_fp8 v[88:91], a[90:91], a[50:51], v[88:91]// 000000004B9C: D3F30058 1D62655A
	buffer_load_dwordx4 a[164:167], v62, s[24:27], 0 offen offset:1024// 000000004BA4: E05C1400 8086A43E
	v_mfma_f32_16x16x32_fp8_fp8 v[88:91], a[92:93], a[52:53], v[88:91]// 000000004BAC: D3F30058 1D62695C
	v_mfma_f32_16x16x32_fp8_fp8 v[88:91], a[94:95], a[54:55], v[88:91]// 000000004BB4: D3F30058 1D626D5E
	v_mfma_f32_16x16x32_fp8_fp8 v[108:111], a[96:97], a[48:49], v[108:111]// 000000004BBC: D3F3006C 1DB26160
	v_mfma_f32_16x16x32_fp8_fp8 v[108:111], a[98:99], a[50:51], v[108:111]// 000000004BC4: D3F3006C 1DB26562
	buffer_load_dwordx4 a[168:171], v63, s[24:27], 0 offen     // 000000004BCC: E05C1000 8086A83F
	v_mfma_f32_16x16x32_fp8_fp8 v[108:111], a[100:101], a[52:53], v[108:111]// 000000004BD4: D3F3006C 1DB26964
	v_mfma_f32_16x16x32_fp8_fp8 v[108:111], a[102:103], a[54:55], v[108:111]// 000000004BDC: D3F3006C 1DB26D66
	v_mfma_f32_16x16x32_fp8_fp8 v[128:131], a[104:105], a[48:49], v[128:131]// 000000004BE4: D3F30080 1E026168
	v_mfma_f32_16x16x32_fp8_fp8 v[128:131], a[106:107], a[50:51], v[128:131]// 000000004BEC: D3F30080 1E02656A
	buffer_load_dwordx4 a[172:175], v63, s[24:27], 0 offen offset:1024// 000000004BF4: E05C1400 8086AC3F
	buffer_load_dword v50, s[20:23], 0 offen lds               // 000000004BFC: E0511000 80050032
	s_add_u32 m0, 0x100, s50                                   // 000000004C04: 807C32FF 00000100
	v_mfma_f32_16x16x32_fp8_fp8 v[128:131], a[108:109], a[52:53], v[128:131]// 000000004C0C: D3F30080 1E02696C
	v_mfma_f32_16x16x32_fp8_fp8 v[128:131], a[110:111], a[54:55], v[128:131]// 000000004C14: D3F30080 1E026D6E
	buffer_load_dword v51, s[20:23], 0 offen lds               // 000000004C1C: E0511000 80050033
	s_add_u32 m0, 0x200, s50                                   // 000000004C24: 807C32FF 00000200
	v_mfma_f32_16x16x32_fp8_fp8 v[72:75], a[80:81], a[56:57], v[72:75]// 000000004C2C: D3F30048 1D227150
	v_mfma_f32_16x16x32_fp8_fp8 v[72:75], a[82:83], a[58:59], v[72:75]// 000000004C34: D3F30048 1D227552
	buffer_load_dword v52, s[20:23], 0 offen lds               // 000000004C3C: E0511000 80050034
	s_add_u32 m0, 0x300, s50                                   // 000000004C44: 807C32FF 00000300
	v_mfma_f32_16x16x32_fp8_fp8 v[72:75], a[84:85], a[60:61], v[72:75]// 000000004C4C: D3F30048 1D227954
	v_mfma_f32_16x16x32_fp8_fp8 v[72:75], a[86:87], a[62:63], v[72:75]// 000000004C54: D3F30048 1D227D56
	buffer_load_dword v53, s[20:23], 0 offen lds               // 000000004C5C: E0511000 80050035
	s_add_u32 m0, 0x400, s50                                   // 000000004C64: 807C32FF 00000400
	v_mfma_f32_16x16x32_fp8_fp8 v[92:95], a[88:89], a[56:57], v[92:95]// 000000004C6C: D3F3005C 1D727158
	v_mfma_f32_16x16x32_fp8_fp8 v[92:95], a[90:91], a[58:59], v[92:95]// 000000004C74: D3F3005C 1D72755A
	buffer_load_dword v54, s[20:23], 0 offen lds               // 000000004C7C: E0511000 80050036
	s_add_u32 m0, 0x500, s50                                   // 000000004C84: 807C32FF 00000500
	v_mfma_f32_16x16x32_fp8_fp8 v[92:95], a[92:93], a[60:61], v[92:95]// 000000004C8C: D3F3005C 1D72795C
	v_mfma_f32_16x16x32_fp8_fp8 v[92:95], a[94:95], a[62:63], v[92:95]// 000000004C94: D3F3005C 1D727D5E
	buffer_load_dword v55, s[20:23], 0 offen lds               // 000000004C9C: E0511000 80050037
	s_add_u32 m0, 0x600, s50                                   // 000000004CA4: 807C32FF 00000600
	v_mfma_f32_16x16x32_fp8_fp8 v[112:115], a[96:97], a[56:57], v[112:115]// 000000004CAC: D3F30070 1DC27160
	v_mfma_f32_16x16x32_fp8_fp8 v[112:115], a[98:99], a[58:59], v[112:115]// 000000004CB4: D3F30070 1DC27562
	buffer_load_dword v56, s[20:23], 0 offen lds               // 000000004CBC: E0511000 80050038
	s_add_u32 m0, 0x700, s50                                   // 000000004CC4: 807C32FF 00000700
	v_mfma_f32_16x16x32_fp8_fp8 v[112:115], a[100:101], a[60:61], v[112:115]// 000000004CCC: D3F30070 1DC27964
	v_mfma_f32_16x16x32_fp8_fp8 v[112:115], a[102:103], a[62:63], v[112:115]// 000000004CD4: D3F30070 1DC27D66
	buffer_load_dword v57, s[20:23], 0 offen lds               // 000000004CDC: E0511000 80050039
	s_add_u32 m0, 0x800, s50                                   // 000000004CE4: 807C32FF 00000800
	v_mfma_f32_16x16x32_fp8_fp8 v[132:135], a[104:105], a[56:57], v[132:135]// 000000004CEC: D3F30084 1E127168
	v_mfma_f32_16x16x32_fp8_fp8 v[132:135], a[106:107], a[58:59], v[132:135]// 000000004CF4: D3F30084 1E12756A
	buffer_load_dword v58, s[20:23], 0 offen lds               // 000000004CFC: E0511000 8005003A
	s_add_u32 m0, 0x900, s50                                   // 000000004D04: 807C32FF 00000900
	v_mfma_f32_16x16x32_fp8_fp8 v[132:135], a[108:109], a[60:61], v[132:135]// 000000004D0C: D3F30084 1E12796C
	v_mfma_f32_16x16x32_fp8_fp8 v[132:135], a[110:111], a[62:63], v[132:135]// 000000004D14: D3F30084 1E127D6E
	buffer_load_dword v59, s[20:23], 0 offen lds               // 000000004D1C: E0511000 8005003B
	s_add_u32 m0, 0, s48                                       // 000000004D24: 807C3080
	v_mfma_f32_16x16x32_fp8_fp8 v[76:79], a[80:81], a[64:65], v[76:79]// 000000004D28: D3F3004C 1D328150
	v_mfma_f32_16x16x32_fp8_fp8 v[76:79], a[82:83], a[66:67], v[76:79]// 000000004D30: D3F3004C 1D328552
	v_mfma_f32_16x16x32_fp8_fp8 v[76:79], a[84:85], a[68:69], v[76:79]// 000000004D38: D3F3004C 1D328954
	v_mfma_f32_16x16x32_fp8_fp8 v[76:79], a[86:87], a[70:71], v[76:79]// 000000004D40: D3F3004C 1D328D56
	v_mfma_f32_16x16x32_fp8_fp8 v[96:99], a[88:89], a[64:65], v[96:99]// 000000004D48: D3F30060 1D828158
	v_mfma_f32_16x16x32_fp8_fp8 v[96:99], a[90:91], a[66:67], v[96:99]// 000000004D50: D3F30060 1D82855A
	v_mfma_f32_16x16x32_fp8_fp8 v[96:99], a[92:93], a[68:69], v[96:99]// 000000004D58: D3F30060 1D82895C
	v_mfma_f32_16x16x32_fp8_fp8 v[96:99], a[94:95], a[70:71], v[96:99]// 000000004D60: D3F30060 1D828D5E
	v_mfma_f32_16x16x32_fp8_fp8 v[116:119], a[96:97], a[64:65], v[116:119]// 000000004D68: D3F30074 1DD28160
	v_mfma_f32_16x16x32_fp8_fp8 v[116:119], a[98:99], a[66:67], v[116:119]// 000000004D70: D3F30074 1DD28562
	v_mfma_f32_16x16x32_fp8_fp8 v[116:119], a[100:101], a[68:69], v[116:119]// 000000004D78: D3F30074 1DD28964
	v_mfma_f32_16x16x32_fp8_fp8 v[116:119], a[102:103], a[70:71], v[116:119]// 000000004D80: D3F30074 1DD28D66
	v_mfma_f32_16x16x32_fp8_fp8 v[136:139], a[104:105], a[64:65], v[136:139]// 000000004D88: D3F30088 1E228168
	v_mfma_f32_16x16x32_fp8_fp8 v[136:139], a[106:107], a[66:67], v[136:139]// 000000004D90: D3F30088 1E22856A
	v_mfma_f32_16x16x32_fp8_fp8 v[136:139], a[108:109], a[68:69], v[136:139]// 000000004D98: D3F30088 1E22896C
	v_mfma_f32_16x16x32_fp8_fp8 v[136:139], a[110:111], a[70:71], v[136:139]// 000000004DA0: D3F30088 1E228D6E
	v_mfma_f32_16x16x32_fp8_fp8 v[80:83], a[80:81], a[72:73], v[80:83]// 000000004DA8: D3F30050 1D429150
	v_mfma_f32_16x16x32_fp8_fp8 v[80:83], a[82:83], a[74:75], v[80:83]// 000000004DB0: D3F30050 1D429552
	v_mfma_f32_16x16x32_fp8_fp8 v[80:83], a[84:85], a[76:77], v[80:83]// 000000004DB8: D3F30050 1D429954
	v_mfma_f32_16x16x32_fp8_fp8 v[80:83], a[86:87], a[78:79], v[80:83]// 000000004DC0: D3F30050 1D429D56
	v_mfma_f32_16x16x32_fp8_fp8 v[100:103], a[88:89], a[72:73], v[100:103]// 000000004DC8: D3F30064 1D929158
	v_mfma_f32_16x16x32_fp8_fp8 v[100:103], a[90:91], a[74:75], v[100:103]// 000000004DD0: D3F30064 1D92955A
	v_mfma_f32_16x16x32_fp8_fp8 v[100:103], a[92:93], a[76:77], v[100:103]// 000000004DD8: D3F30064 1D92995C
	v_mfma_f32_16x16x32_fp8_fp8 v[100:103], a[94:95], a[78:79], v[100:103]// 000000004DE0: D3F30064 1D929D5E
	v_mfma_f32_16x16x32_fp8_fp8 v[120:123], a[96:97], a[72:73], v[120:123]// 000000004DE8: D3F30078 1DE29160
	v_mfma_f32_16x16x32_fp8_fp8 v[120:123], a[98:99], a[74:75], v[120:123]// 000000004DF0: D3F30078 1DE29562
	v_mfma_f32_16x16x32_fp8_fp8 v[120:123], a[100:101], a[76:77], v[120:123]// 000000004DF8: D3F30078 1DE29964
	v_mfma_f32_16x16x32_fp8_fp8 v[120:123], a[102:103], a[78:79], v[120:123]// 000000004E00: D3F30078 1DE29D66
	v_mfma_f32_16x16x32_fp8_fp8 v[140:143], a[104:105], a[72:73], v[140:143]// 000000004E08: D3F3008C 1E329168
	v_mfma_f32_16x16x32_fp8_fp8 v[140:143], a[106:107], a[74:75], v[140:143]// 000000004E10: D3F3008C 1E32956A
	v_mfma_f32_16x16x32_fp8_fp8 v[140:143], a[108:109], a[76:77], v[140:143]// 000000004E18: D3F3008C 1E32996C
	v_mfma_f32_16x16x32_fp8_fp8 v[140:143], a[110:111], a[78:79], v[140:143]// 000000004E20: D3F3008C 1E329D6E
	s_waitcnt vmcnt(18)                                        // 000000004E28: BF8C4F72
	s_barrier                                                  // 000000004E2C: BF8A0000
	v_mfma_f32_16x16x32_fp8_fp8 v[144:147], a[112:113], a[40:41], v[144:147]// 000000004E30: D3F30090 1E425170
	v_mfma_f32_16x16x32_fp8_fp8 v[144:147], a[114:115], a[42:43], v[144:147]// 000000004E38: D3F30090 1E425572
	buffer_load_dwordx4 a[80:83], v60, s[84:87], 0 offen       // 000000004E40: E05C1000 8095503C
	v_mfma_f32_16x16x32_fp8_fp8 v[144:147], a[116:117], a[44:45], v[144:147]// 000000004E48: D3F30090 1E425974
	v_mfma_f32_16x16x32_fp8_fp8 v[144:147], a[118:119], a[46:47], v[144:147]// 000000004E50: D3F30090 1E425D76
	ds_read_b128 a[0:3], v2 offset:10368                       // 000000004E58: DBFE2880 00000002
	ds_read_b128 a[4:7], v2 offset:10432                       // 000000004E60: DBFE28C0 04000002
	v_mfma_f32_16x16x32_fp8_fp8 v[164:167], a[120:121], a[40:41], v[164:167]// 000000004E68: D3F300A4 1E925178
	v_mfma_f32_16x16x32_fp8_fp8 v[164:167], a[122:123], a[42:43], v[164:167]// 000000004E70: D3F300A4 1E92557A
	buffer_load_dwordx4 a[84:87], v60, s[84:87], 0 offen offset:1024// 000000004E78: E05C1400 8095543C
	v_mfma_f32_16x16x32_fp8_fp8 v[164:167], a[124:125], a[44:45], v[164:167]// 000000004E80: D3F300A4 1E92597C
	v_mfma_f32_16x16x32_fp8_fp8 v[164:167], a[126:127], a[46:47], v[164:167]// 000000004E88: D3F300A4 1E925D7E
	ds_read_b128 a[8:11], v2 offset:10880                      // 000000004E90: DBFE2A80 08000002
	ds_read_b128 a[12:15], v2 offset:10944                     // 000000004E98: DBFE2AC0 0C000002
	v_mfma_f32_16x16x32_fp8_fp8 v[184:187], a[128:129], a[40:41], v[184:187]// 000000004EA0: D3F300B8 1EE25180
	v_mfma_f32_16x16x32_fp8_fp8 v[184:187], a[130:131], a[42:43], v[184:187]// 000000004EA8: D3F300B8 1EE25582
	buffer_load_dwordx4 a[88:91], v61, s[84:87], 0 offen       // 000000004EB0: E05C1000 8095583D
	v_mfma_f32_16x16x32_fp8_fp8 v[184:187], a[132:133], a[44:45], v[184:187]// 000000004EB8: D3F300B8 1EE25984
	v_mfma_f32_16x16x32_fp8_fp8 v[184:187], a[134:135], a[46:47], v[184:187]// 000000004EC0: D3F300B8 1EE25D86
	ds_read_b128 a[16:19], v2 offset:11392                     // 000000004EC8: DBFE2C80 10000002
	ds_read_b128 a[20:23], v2 offset:11456                     // 000000004ED0: DBFE2CC0 14000002
	v_mfma_f32_16x16x32_fp8_fp8 v[204:207], a[136:137], a[40:41], v[204:207]// 000000004ED8: D3F300CC 1F325188
	v_mfma_f32_16x16x32_fp8_fp8 v[204:207], a[138:139], a[42:43], v[204:207]// 000000004EE0: D3F300CC 1F32558A
	buffer_load_dwordx4 a[92:95], v61, s[84:87], 0 offen offset:1024// 000000004EE8: E05C1400 80955C3D
	v_mfma_f32_16x16x32_fp8_fp8 v[204:207], a[140:141], a[44:45], v[204:207]// 000000004EF0: D3F300CC 1F32598C
	v_mfma_f32_16x16x32_fp8_fp8 v[204:207], a[142:143], a[46:47], v[204:207]// 000000004EF8: D3F300CC 1F325D8E
	ds_read_b128 a[24:27], v2 offset:11904                     // 000000004F00: DBFE2E80 18000002
	ds_read_b128 a[28:31], v2 offset:11968                     // 000000004F08: DBFE2EC0 1C000002
	v_mfma_f32_16x16x32_fp8_fp8 v[148:151], a[112:113], a[48:49], v[148:151]// 000000004F10: D3F30094 1E526170
	v_mfma_f32_16x16x32_fp8_fp8 v[148:151], a[114:115], a[50:51], v[148:151]// 000000004F18: D3F30094 1E526572
	buffer_load_dwordx4 a[96:99], v62, s[84:87], 0 offen       // 000000004F20: E05C1000 8095603E
	v_mfma_f32_16x16x32_fp8_fp8 v[148:151], a[116:117], a[52:53], v[148:151]// 000000004F28: D3F30094 1E526974
	v_mfma_f32_16x16x32_fp8_fp8 v[148:151], a[118:119], a[54:55], v[148:151]// 000000004F30: D3F30094 1E526D76
	ds_read_b128 a[32:35], v2 offset:12416                     // 000000004F38: DBFE3080 20000002
	ds_read_b128 a[36:39], v2 offset:12480                     // 000000004F40: DBFE30C0 24000002
	v_mfma_f32_16x16x32_fp8_fp8 v[168:171], a[120:121], a[48:49], v[168:171]// 000000004F48: D3F300A8 1EA26178
	v_mfma_f32_16x16x32_fp8_fp8 v[168:171], a[122:123], a[50:51], v[168:171]// 000000004F50: D3F300A8 1EA2657A
	buffer_load_dwordx4 a[100:103], v62, s[84:87], 0 offen offset:1024// 000000004F58: E05C1400 8095643E
	v_mfma_f32_16x16x32_fp8_fp8 v[168:171], a[124:125], a[52:53], v[168:171]// 000000004F60: D3F300A8 1EA2697C
	v_mfma_f32_16x16x32_fp8_fp8 v[168:171], a[126:127], a[54:55], v[168:171]// 000000004F68: D3F300A8 1EA26D7E
	v_mfma_f32_16x16x32_fp8_fp8 v[188:191], a[128:129], a[48:49], v[188:191]// 000000004F70: D3F300BC 1EF26180
	v_mfma_f32_16x16x32_fp8_fp8 v[188:191], a[130:131], a[50:51], v[188:191]// 000000004F78: D3F300BC 1EF26582
	buffer_load_dwordx4 a[104:107], v63, s[84:87], 0 offen     // 000000004F80: E05C1000 8095683F
	v_mfma_f32_16x16x32_fp8_fp8 v[188:191], a[132:133], a[52:53], v[188:191]// 000000004F88: D3F300BC 1EF26984
	v_mfma_f32_16x16x32_fp8_fp8 v[188:191], a[134:135], a[54:55], v[188:191]// 000000004F90: D3F300BC 1EF26D86
	v_mfma_f32_16x16x32_fp8_fp8 v[208:211], a[136:137], a[48:49], v[208:211]// 000000004F98: D3F300D0 1F426188
	v_mfma_f32_16x16x32_fp8_fp8 v[208:211], a[138:139], a[50:51], v[208:211]// 000000004FA0: D3F300D0 1F42658A
	buffer_load_dwordx4 a[108:111], v63, s[84:87], 0 offen offset:1024// 000000004FA8: E05C1400 80956C3F
	v_mfma_f32_16x16x32_fp8_fp8 v[208:211], a[140:141], a[52:53], v[208:211]// 000000004FB0: D3F300D0 1F42698C
	v_mfma_f32_16x16x32_fp8_fp8 v[208:211], a[142:143], a[54:55], v[208:211]// 000000004FB8: D3F300D0 1F426D8E
	v_mfma_f32_16x16x32_fp8_fp8 v[152:155], a[112:113], a[56:57], v[152:155]// 000000004FC0: D3F30098 1E627170
	v_mfma_f32_16x16x32_fp8_fp8 v[152:155], a[114:115], a[58:59], v[152:155]// 000000004FC8: D3F30098 1E627572
	v_mfma_f32_16x16x32_fp8_fp8 v[152:155], a[116:117], a[60:61], v[152:155]// 000000004FD0: D3F30098 1E627974
	v_mfma_f32_16x16x32_fp8_fp8 v[152:155], a[118:119], a[62:63], v[152:155]// 000000004FD8: D3F30098 1E627D76
	v_mfma_f32_16x16x32_fp8_fp8 v[172:175], a[120:121], a[56:57], v[172:175]// 000000004FE0: D3F300AC 1EB27178
	v_mfma_f32_16x16x32_fp8_fp8 v[172:175], a[122:123], a[58:59], v[172:175]// 000000004FE8: D3F300AC 1EB2757A
	v_mfma_f32_16x16x32_fp8_fp8 v[172:175], a[124:125], a[60:61], v[172:175]// 000000004FF0: D3F300AC 1EB2797C
	v_mfma_f32_16x16x32_fp8_fp8 v[172:175], a[126:127], a[62:63], v[172:175]// 000000004FF8: D3F300AC 1EB27D7E
	v_mfma_f32_16x16x32_fp8_fp8 v[192:195], a[128:129], a[56:57], v[192:195]// 000000005000: D3F300C0 1F027180
	v_mfma_f32_16x16x32_fp8_fp8 v[192:195], a[130:131], a[58:59], v[192:195]// 000000005008: D3F300C0 1F027582
	v_mfma_f32_16x16x32_fp8_fp8 v[192:195], a[132:133], a[60:61], v[192:195]// 000000005010: D3F300C0 1F027984
	v_mfma_f32_16x16x32_fp8_fp8 v[192:195], a[134:135], a[62:63], v[192:195]// 000000005018: D3F300C0 1F027D86
	v_mfma_f32_16x16x32_fp8_fp8 v[212:215], a[136:137], a[56:57], v[212:215]// 000000005020: D3F300D4 1F527188
	v_mfma_f32_16x16x32_fp8_fp8 v[212:215], a[138:139], a[58:59], v[212:215]// 000000005028: D3F300D4 1F52758A
	v_mfma_f32_16x16x32_fp8_fp8 v[212:215], a[140:141], a[60:61], v[212:215]// 000000005030: D3F300D4 1F52798C
	v_mfma_f32_16x16x32_fp8_fp8 v[212:215], a[142:143], a[62:63], v[212:215]// 000000005038: D3F300D4 1F527D8E
	v_mfma_f32_16x16x32_fp8_fp8 v[156:159], a[112:113], a[64:65], v[156:159]// 000000005040: D3F3009C 1E728170
	v_mfma_f32_16x16x32_fp8_fp8 v[156:159], a[114:115], a[66:67], v[156:159]// 000000005048: D3F3009C 1E728572
	v_mfma_f32_16x16x32_fp8_fp8 v[156:159], a[116:117], a[68:69], v[156:159]// 000000005050: D3F3009C 1E728974
	v_mfma_f32_16x16x32_fp8_fp8 v[156:159], a[118:119], a[70:71], v[156:159]// 000000005058: D3F3009C 1E728D76
	v_mfma_f32_16x16x32_fp8_fp8 v[176:179], a[120:121], a[64:65], v[176:179]// 000000005060: D3F300B0 1EC28178
	v_mfma_f32_16x16x32_fp8_fp8 v[176:179], a[122:123], a[66:67], v[176:179]// 000000005068: D3F300B0 1EC2857A
	v_mfma_f32_16x16x32_fp8_fp8 v[176:179], a[124:125], a[68:69], v[176:179]// 000000005070: D3F300B0 1EC2897C
	v_mfma_f32_16x16x32_fp8_fp8 v[176:179], a[126:127], a[70:71], v[176:179]// 000000005078: D3F300B0 1EC28D7E
	v_mfma_f32_16x16x32_fp8_fp8 v[196:199], a[128:129], a[64:65], v[196:199]// 000000005080: D3F300C4 1F128180
	v_mfma_f32_16x16x32_fp8_fp8 v[196:199], a[130:131], a[66:67], v[196:199]// 000000005088: D3F300C4 1F128582
	v_mfma_f32_16x16x32_fp8_fp8 v[196:199], a[132:133], a[68:69], v[196:199]// 000000005090: D3F300C4 1F128984
	v_mfma_f32_16x16x32_fp8_fp8 v[196:199], a[134:135], a[70:71], v[196:199]// 000000005098: D3F300C4 1F128D86
	v_mfma_f32_16x16x32_fp8_fp8 v[216:219], a[136:137], a[64:65], v[216:219]// 0000000050A0: D3F300D8 1F628188
	v_mfma_f32_16x16x32_fp8_fp8 v[216:219], a[138:139], a[66:67], v[216:219]// 0000000050A8: D3F300D8 1F62858A
	v_mfma_f32_16x16x32_fp8_fp8 v[216:219], a[140:141], a[68:69], v[216:219]// 0000000050B0: D3F300D8 1F62898C
	v_mfma_f32_16x16x32_fp8_fp8 v[216:219], a[142:143], a[70:71], v[216:219]// 0000000050B8: D3F300D8 1F628D8E
	v_mfma_f32_16x16x32_fp8_fp8 v[160:163], a[112:113], a[72:73], v[160:163]// 0000000050C0: D3F300A0 1E829170
	v_mfma_f32_16x16x32_fp8_fp8 v[160:163], a[114:115], a[74:75], v[160:163]// 0000000050C8: D3F300A0 1E829572
	v_mfma_f32_16x16x32_fp8_fp8 v[160:163], a[116:117], a[76:77], v[160:163]// 0000000050D0: D3F300A0 1E829974
	v_mfma_f32_16x16x32_fp8_fp8 v[160:163], a[118:119], a[78:79], v[160:163]// 0000000050D8: D3F300A0 1E829D76
	v_mfma_f32_16x16x32_fp8_fp8 v[180:183], a[120:121], a[72:73], v[180:183]// 0000000050E0: D3F300B4 1ED29178
	v_mfma_f32_16x16x32_fp8_fp8 v[180:183], a[122:123], a[74:75], v[180:183]// 0000000050E8: D3F300B4 1ED2957A
	v_mfma_f32_16x16x32_fp8_fp8 v[180:183], a[124:125], a[76:77], v[180:183]// 0000000050F0: D3F300B4 1ED2997C
	v_mfma_f32_16x16x32_fp8_fp8 v[180:183], a[126:127], a[78:79], v[180:183]// 0000000050F8: D3F300B4 1ED29D7E
	v_mfma_f32_16x16x32_fp8_fp8 v[200:203], a[128:129], a[72:73], v[200:203]// 000000005100: D3F300C8 1F229180
	s_add_u32 s60, 0x180, s80                                  // 000000005108: 803C50FF 00000180
	s_cmp_lt_u32 s60, s81                                      // 000000005110: BF0A513C
	s_cselect_b32 s57, s57, 0                                  // 000000005114: 85398039
	v_mfma_f32_16x16x32_fp8_fp8 v[200:203], a[130:131], a[74:75], v[200:203]// 000000005118: D3F300C8 1F229582
	s_add_u32 s60, 0x100, s80                                  // 000000005120: 803C50FF 00000100
	s_cmp_lt_u32 s60, s81                                      // 000000005128: BF0A513C
	s_cselect_b32 s58, s58, 0                                  // 00000000512C: 853A803A
	v_mfma_f32_16x16x32_fp8_fp8 v[200:203], a[132:133], a[76:77], v[200:203]// 000000005130: D3F300C8 1F229984
	s_add_u32 s60, 0x100, s80                                  // 000000005138: 803C50FF 00000100
	s_cmp_lt_u32 s60, s81                                      // 000000005140: BF0A513C
	s_cselect_b32 s83, s83, 0                                  // 000000005144: 85538053
	v_mfma_f32_16x16x32_fp8_fp8 v[200:203], a[134:135], a[78:79], v[200:203]// 000000005148: D3F300C8 1F229D86
	s_add_u32 s24, s58, s24                                    // 000000005150: 8018183A
	s_addc_u32 s25, 0, s25                                     // 000000005154: 82191980
	v_mfma_f32_16x16x32_fp8_fp8 v[220:223], a[136:137], a[72:73], v[220:223]// 000000005158: D3F300DC 1F729188
	s_add_u32 s20, s57, s20                                    // 000000005160: 80141439
	s_addc_u32 s21, 0, s21                                     // 000000005164: 82151580
	v_mfma_f32_16x16x32_fp8_fp8 v[220:223], a[138:139], a[74:75], v[220:223]// 000000005168: D3F300DC 1F72958A
	s_add_u32 s84, s83, s84                                    // 000000005170: 80545453
	s_addc_u32 s85, 0, s85                                     // 000000005174: 82555580
	v_mfma_f32_16x16x32_fp8_fp8 v[220:223], a[140:141], a[76:77], v[220:223]// 000000005178: D3F300DC 1F72998C
	v_mfma_f32_16x16x32_fp8_fp8 v[220:223], a[142:143], a[78:79], v[220:223]// 000000005180: D3F300DC 1F729D8E
	s_addk_i32 s80, 0x80                                       // 000000005188: B7500080
	s_cmp_lt_i32 s80, s81                                      // 00000000518C: BF045150
	s_cbranch_scc0 label_0D4C                                  // 000000005190: BF840367
	s_waitcnt vmcnt(18) lgkmcnt(0)                             // 000000005194: BF8C4072
	v_mfma_f32_16x16x32_fp8_fp8 v[64:67], a[144:145], a[0:1], v[64:67]// 000000005198: D3F30040 1D020190
	v_mfma_f32_16x16x32_fp8_fp8 v[64:67], a[146:147], a[2:3], v[64:67]// 0000000051A0: D3F30040 1D020592
	buffer_load_dwordx4 a[112:115], v60, s[24:27], 0 offen     // 0000000051A8: E05C1000 8086703C
	v_mfma_f32_16x16x32_fp8_fp8 v[64:67], a[148:149], a[4:5], v[64:67]// 0000000051B0: D3F30040 1D020994
	v_mfma_f32_16x16x32_fp8_fp8 v[64:67], a[150:151], a[6:7], v[64:67]// 0000000051B8: D3F30040 1D020D96
	v_mfma_f32_16x16x32_fp8_fp8 v[84:87], a[152:153], a[0:1], v[84:87]// 0000000051C0: D3F30054 1D520198
	v_mfma_f32_16x16x32_fp8_fp8 v[84:87], a[154:155], a[2:3], v[84:87]// 0000000051C8: D3F30054 1D52059A
	buffer_load_dwordx4 a[116:119], v60, s[24:27], 0 offen offset:1024// 0000000051D0: E05C1400 8086743C
	v_mfma_f32_16x16x32_fp8_fp8 v[84:87], a[156:157], a[4:5], v[84:87]// 0000000051D8: D3F30054 1D52099C
	v_mfma_f32_16x16x32_fp8_fp8 v[84:87], a[158:159], a[6:7], v[84:87]// 0000000051E0: D3F30054 1D520D9E
	v_mfma_f32_16x16x32_fp8_fp8 v[104:107], a[160:161], a[0:1], v[104:107]// 0000000051E8: D3F30068 1DA201A0
	v_mfma_f32_16x16x32_fp8_fp8 v[104:107], a[162:163], a[2:3], v[104:107]// 0000000051F0: D3F30068 1DA205A2
	buffer_load_dwordx4 a[120:123], v61, s[24:27], 0 offen     // 0000000051F8: E05C1000 8086783D
	v_mfma_f32_16x16x32_fp8_fp8 v[104:107], a[164:165], a[4:5], v[104:107]// 000000005200: D3F30068 1DA209A4
	v_mfma_f32_16x16x32_fp8_fp8 v[104:107], a[166:167], a[6:7], v[104:107]// 000000005208: D3F30068 1DA20DA6
	v_mfma_f32_16x16x32_fp8_fp8 v[124:127], a[168:169], a[0:1], v[124:127]// 000000005210: D3F3007C 1DF201A8
	v_mfma_f32_16x16x32_fp8_fp8 v[124:127], a[170:171], a[2:3], v[124:127]// 000000005218: D3F3007C 1DF205AA
	buffer_load_dwordx4 a[124:127], v61, s[24:27], 0 offen offset:1024// 000000005220: E05C1400 80867C3D
	v_mfma_f32_16x16x32_fp8_fp8 v[124:127], a[172:173], a[4:5], v[124:127]// 000000005228: D3F3007C 1DF209AC
	v_mfma_f32_16x16x32_fp8_fp8 v[124:127], a[174:175], a[6:7], v[124:127]// 000000005230: D3F3007C 1DF20DAE
	v_mfma_f32_16x16x32_fp8_fp8 v[68:71], a[144:145], a[8:9], v[68:71]// 000000005238: D3F30044 1D121190
	v_mfma_f32_16x16x32_fp8_fp8 v[68:71], a[146:147], a[10:11], v[68:71]// 000000005240: D3F30044 1D121592
	buffer_load_dwordx4 a[128:131], v62, s[24:27], 0 offen     // 000000005248: E05C1000 8086803E
	v_mfma_f32_16x16x32_fp8_fp8 v[68:71], a[148:149], a[12:13], v[68:71]// 000000005250: D3F30044 1D121994
	v_mfma_f32_16x16x32_fp8_fp8 v[68:71], a[150:151], a[14:15], v[68:71]// 000000005258: D3F30044 1D121D96
	v_mfma_f32_16x16x32_fp8_fp8 v[88:91], a[152:153], a[8:9], v[88:91]// 000000005260: D3F30058 1D621198
	v_mfma_f32_16x16x32_fp8_fp8 v[88:91], a[154:155], a[10:11], v[88:91]// 000000005268: D3F30058 1D62159A
	buffer_load_dwordx4 a[132:135], v62, s[24:27], 0 offen offset:1024// 000000005270: E05C1400 8086843E
	v_mfma_f32_16x16x32_fp8_fp8 v[88:91], a[156:157], a[12:13], v[88:91]// 000000005278: D3F30058 1D62199C
	v_mfma_f32_16x16x32_fp8_fp8 v[88:91], a[158:159], a[14:15], v[88:91]// 000000005280: D3F30058 1D621D9E
	v_mfma_f32_16x16x32_fp8_fp8 v[108:111], a[160:161], a[8:9], v[108:111]// 000000005288: D3F3006C 1DB211A0
	v_mfma_f32_16x16x32_fp8_fp8 v[108:111], a[162:163], a[10:11], v[108:111]// 000000005290: D3F3006C 1DB215A2
	buffer_load_dwordx4 a[136:139], v63, s[24:27], 0 offen     // 000000005298: E05C1000 8086883F
	v_mfma_f32_16x16x32_fp8_fp8 v[108:111], a[164:165], a[12:13], v[108:111]// 0000000052A0: D3F3006C 1DB219A4
	v_mfma_f32_16x16x32_fp8_fp8 v[108:111], a[166:167], a[14:15], v[108:111]// 0000000052A8: D3F3006C 1DB21DA6
	v_mfma_f32_16x16x32_fp8_fp8 v[128:131], a[168:169], a[8:9], v[128:131]// 0000000052B0: D3F30080 1E0211A8
	v_mfma_f32_16x16x32_fp8_fp8 v[128:131], a[170:171], a[10:11], v[128:131]// 0000000052B8: D3F30080 1E0215AA
	buffer_load_dwordx4 a[140:143], v63, s[24:27], 0 offen offset:1024// 0000000052C0: E05C1400 80868C3F
	buffer_load_dword v50, s[20:23], 0 offen lds               // 0000000052C8: E0511000 80050032
	s_add_u32 m0, 0x100, s48                                   // 0000000052D0: 807C30FF 00000100
	v_mfma_f32_16x16x32_fp8_fp8 v[128:131], a[172:173], a[12:13], v[128:131]// 0000000052D8: D3F30080 1E0219AC
	v_mfma_f32_16x16x32_fp8_fp8 v[128:131], a[174:175], a[14:15], v[128:131]// 0000000052E0: D3F30080 1E021DAE
	buffer_load_dword v51, s[20:23], 0 offen lds               // 0000000052E8: E0511000 80050033
	s_add_u32 m0, 0x200, s48                                   // 0000000052F0: 807C30FF 00000200
	v_mfma_f32_16x16x32_fp8_fp8 v[72:75], a[144:145], a[16:17], v[72:75]// 0000000052F8: D3F30048 1D222190
	v_mfma_f32_16x16x32_fp8_fp8 v[72:75], a[146:147], a[18:19], v[72:75]// 000000005300: D3F30048 1D222592
	buffer_load_dword v52, s[20:23], 0 offen lds               // 000000005308: E0511000 80050034
	s_add_u32 m0, 0x300, s48                                   // 000000005310: 807C30FF 00000300
	v_mfma_f32_16x16x32_fp8_fp8 v[72:75], a[148:149], a[20:21], v[72:75]// 000000005318: D3F30048 1D222994
	v_mfma_f32_16x16x32_fp8_fp8 v[72:75], a[150:151], a[22:23], v[72:75]// 000000005320: D3F30048 1D222D96
	buffer_load_dword v53, s[20:23], 0 offen lds               // 000000005328: E0511000 80050035
	s_add_u32 m0, 0x400, s48                                   // 000000005330: 807C30FF 00000400
	v_mfma_f32_16x16x32_fp8_fp8 v[92:95], a[152:153], a[16:17], v[92:95]// 000000005338: D3F3005C 1D722198
	v_mfma_f32_16x16x32_fp8_fp8 v[92:95], a[154:155], a[18:19], v[92:95]// 000000005340: D3F3005C 1D72259A
	buffer_load_dword v54, s[20:23], 0 offen lds               // 000000005348: E0511000 80050036
	s_add_u32 m0, 0x500, s48                                   // 000000005350: 807C30FF 00000500
	v_mfma_f32_16x16x32_fp8_fp8 v[92:95], a[156:157], a[20:21], v[92:95]// 000000005358: D3F3005C 1D72299C
	v_mfma_f32_16x16x32_fp8_fp8 v[92:95], a[158:159], a[22:23], v[92:95]// 000000005360: D3F3005C 1D722D9E
	buffer_load_dword v55, s[20:23], 0 offen lds               // 000000005368: E0511000 80050037
	s_add_u32 m0, 0x600, s48                                   // 000000005370: 807C30FF 00000600
	v_mfma_f32_16x16x32_fp8_fp8 v[112:115], a[160:161], a[16:17], v[112:115]// 000000005378: D3F30070 1DC221A0
	v_mfma_f32_16x16x32_fp8_fp8 v[112:115], a[162:163], a[18:19], v[112:115]// 000000005380: D3F30070 1DC225A2
	buffer_load_dword v56, s[20:23], 0 offen lds               // 000000005388: E0511000 80050038
	s_add_u32 m0, 0x700, s48                                   // 000000005390: 807C30FF 00000700
	v_mfma_f32_16x16x32_fp8_fp8 v[112:115], a[164:165], a[20:21], v[112:115]// 000000005398: D3F30070 1DC229A4
	v_mfma_f32_16x16x32_fp8_fp8 v[112:115], a[166:167], a[22:23], v[112:115]// 0000000053A0: D3F30070 1DC22DA6
	buffer_load_dword v57, s[20:23], 0 offen lds               // 0000000053A8: E0511000 80050039
	s_add_u32 m0, 0x800, s48                                   // 0000000053B0: 807C30FF 00000800
	v_mfma_f32_16x16x32_fp8_fp8 v[132:135], a[168:169], a[16:17], v[132:135]// 0000000053B8: D3F30084 1E1221A8
	v_mfma_f32_16x16x32_fp8_fp8 v[132:135], a[170:171], a[18:19], v[132:135]// 0000000053C0: D3F30084 1E1225AA
	buffer_load_dword v58, s[20:23], 0 offen lds               // 0000000053C8: E0511000 8005003A
	s_add_u32 m0, 0x900, s48                                   // 0000000053D0: 807C30FF 00000900
	v_mfma_f32_16x16x32_fp8_fp8 v[132:135], a[172:173], a[20:21], v[132:135]// 0000000053D8: D3F30084 1E1229AC
	v_mfma_f32_16x16x32_fp8_fp8 v[132:135], a[174:175], a[22:23], v[132:135]// 0000000053E0: D3F30084 1E122DAE
	buffer_load_dword v59, s[20:23], 0 offen lds               // 0000000053E8: E0511000 8005003B
	s_add_u32 m0, 0, s49                                       // 0000000053F0: 807C3180
	v_mfma_f32_16x16x32_fp8_fp8 v[76:79], a[144:145], a[24:25], v[76:79]// 0000000053F4: D3F3004C 1D323190
	v_mfma_f32_16x16x32_fp8_fp8 v[76:79], a[146:147], a[26:27], v[76:79]// 0000000053FC: D3F3004C 1D323592
	v_mfma_f32_16x16x32_fp8_fp8 v[76:79], a[148:149], a[28:29], v[76:79]// 000000005404: D3F3004C 1D323994
	v_mfma_f32_16x16x32_fp8_fp8 v[76:79], a[150:151], a[30:31], v[76:79]// 00000000540C: D3F3004C 1D323D96
	v_mfma_f32_16x16x32_fp8_fp8 v[96:99], a[152:153], a[24:25], v[96:99]// 000000005414: D3F30060 1D823198
	v_mfma_f32_16x16x32_fp8_fp8 v[96:99], a[154:155], a[26:27], v[96:99]// 00000000541C: D3F30060 1D82359A
	v_mfma_f32_16x16x32_fp8_fp8 v[96:99], a[156:157], a[28:29], v[96:99]// 000000005424: D3F30060 1D82399C
	v_mfma_f32_16x16x32_fp8_fp8 v[96:99], a[158:159], a[30:31], v[96:99]// 00000000542C: D3F30060 1D823D9E
	v_mfma_f32_16x16x32_fp8_fp8 v[116:119], a[160:161], a[24:25], v[116:119]// 000000005434: D3F30074 1DD231A0
	v_mfma_f32_16x16x32_fp8_fp8 v[116:119], a[162:163], a[26:27], v[116:119]// 00000000543C: D3F30074 1DD235A2
	v_mfma_f32_16x16x32_fp8_fp8 v[116:119], a[164:165], a[28:29], v[116:119]// 000000005444: D3F30074 1DD239A4
	v_mfma_f32_16x16x32_fp8_fp8 v[116:119], a[166:167], a[30:31], v[116:119]// 00000000544C: D3F30074 1DD23DA6
	v_mfma_f32_16x16x32_fp8_fp8 v[136:139], a[168:169], a[24:25], v[136:139]// 000000005454: D3F30088 1E2231A8
	v_mfma_f32_16x16x32_fp8_fp8 v[136:139], a[170:171], a[26:27], v[136:139]// 00000000545C: D3F30088 1E2235AA
	v_mfma_f32_16x16x32_fp8_fp8 v[136:139], a[172:173], a[28:29], v[136:139]// 000000005464: D3F30088 1E2239AC
	v_mfma_f32_16x16x32_fp8_fp8 v[136:139], a[174:175], a[30:31], v[136:139]// 00000000546C: D3F30088 1E223DAE
	v_mfma_f32_16x16x32_fp8_fp8 v[80:83], a[144:145], a[32:33], v[80:83]// 000000005474: D3F30050 1D424190
	v_mfma_f32_16x16x32_fp8_fp8 v[80:83], a[146:147], a[34:35], v[80:83]// 00000000547C: D3F30050 1D424592
	v_mfma_f32_16x16x32_fp8_fp8 v[80:83], a[148:149], a[36:37], v[80:83]// 000000005484: D3F30050 1D424994
	v_mfma_f32_16x16x32_fp8_fp8 v[80:83], a[150:151], a[38:39], v[80:83]// 00000000548C: D3F30050 1D424D96
	v_mfma_f32_16x16x32_fp8_fp8 v[100:103], a[152:153], a[32:33], v[100:103]// 000000005494: D3F30064 1D924198
	v_mfma_f32_16x16x32_fp8_fp8 v[100:103], a[154:155], a[34:35], v[100:103]// 00000000549C: D3F30064 1D92459A
	v_mfma_f32_16x16x32_fp8_fp8 v[100:103], a[156:157], a[36:37], v[100:103]// 0000000054A4: D3F30064 1D92499C
	v_mfma_f32_16x16x32_fp8_fp8 v[100:103], a[158:159], a[38:39], v[100:103]// 0000000054AC: D3F30064 1D924D9E
	v_mfma_f32_16x16x32_fp8_fp8 v[120:123], a[160:161], a[32:33], v[120:123]// 0000000054B4: D3F30078 1DE241A0
	v_mfma_f32_16x16x32_fp8_fp8 v[120:123], a[162:163], a[34:35], v[120:123]// 0000000054BC: D3F30078 1DE245A2
	v_mfma_f32_16x16x32_fp8_fp8 v[120:123], a[164:165], a[36:37], v[120:123]// 0000000054C4: D3F30078 1DE249A4
	v_mfma_f32_16x16x32_fp8_fp8 v[120:123], a[166:167], a[38:39], v[120:123]// 0000000054CC: D3F30078 1DE24DA6
	v_mfma_f32_16x16x32_fp8_fp8 v[140:143], a[168:169], a[32:33], v[140:143]// 0000000054D4: D3F3008C 1E3241A8
	v_mfma_f32_16x16x32_fp8_fp8 v[140:143], a[170:171], a[34:35], v[140:143]// 0000000054DC: D3F3008C 1E3245AA
	v_mfma_f32_16x16x32_fp8_fp8 v[140:143], a[172:173], a[36:37], v[140:143]// 0000000054E4: D3F3008C 1E3249AC
	v_mfma_f32_16x16x32_fp8_fp8 v[140:143], a[174:175], a[38:39], v[140:143]// 0000000054EC: D3F3008C 1E324DAE
	s_waitcnt vmcnt(18)                                        // 0000000054F4: BF8C4F72
	s_barrier                                                  // 0000000054F8: BF8A0000
	v_mfma_f32_16x16x32_fp8_fp8 v[144:147], a[80:81], a[0:1], v[144:147]// 0000000054FC: D3F30090 1E420150
	v_mfma_f32_16x16x32_fp8_fp8 v[144:147], a[82:83], a[2:3], v[144:147]// 000000005504: D3F30090 1E420552
	buffer_load_dwordx4 a[144:147], v60, s[84:87], 0 offen     // 00000000550C: E05C1000 8095903C
	v_mfma_f32_16x16x32_fp8_fp8 v[144:147], a[84:85], a[4:5], v[144:147]// 000000005514: D3F30090 1E420954
	v_mfma_f32_16x16x32_fp8_fp8 v[144:147], a[86:87], a[6:7], v[144:147]// 00000000551C: D3F30090 1E420D56
	ds_read_b128 a[40:43], v2 offset:20736                     // 000000005524: DBFE5100 28000002
	ds_read_b128 a[44:47], v2 offset:20800                     // 00000000552C: DBFE5140 2C000002
	v_mfma_f32_16x16x32_fp8_fp8 v[164:167], a[88:89], a[0:1], v[164:167]// 000000005534: D3F300A4 1E920158
	v_mfma_f32_16x16x32_fp8_fp8 v[164:167], a[90:91], a[2:3], v[164:167]// 00000000553C: D3F300A4 1E92055A
	buffer_load_dwordx4 a[148:151], v60, s[84:87], 0 offen offset:1024// 000000005544: E05C1400 8095943C
	v_mfma_f32_16x16x32_fp8_fp8 v[164:167], a[92:93], a[4:5], v[164:167]// 00000000554C: D3F300A4 1E92095C
	v_mfma_f32_16x16x32_fp8_fp8 v[164:167], a[94:95], a[6:7], v[164:167]// 000000005554: D3F300A4 1E920D5E
	ds_read_b128 a[48:51], v2 offset:21248                     // 00000000555C: DBFE5300 30000002
	ds_read_b128 a[52:55], v2 offset:21312                     // 000000005564: DBFE5340 34000002
	v_mfma_f32_16x16x32_fp8_fp8 v[184:187], a[96:97], a[0:1], v[184:187]// 00000000556C: D3F300B8 1EE20160
	v_mfma_f32_16x16x32_fp8_fp8 v[184:187], a[98:99], a[2:3], v[184:187]// 000000005574: D3F300B8 1EE20562
	buffer_load_dwordx4 a[152:155], v61, s[84:87], 0 offen     // 00000000557C: E05C1000 8095983D
	v_mfma_f32_16x16x32_fp8_fp8 v[184:187], a[100:101], a[4:5], v[184:187]// 000000005584: D3F300B8 1EE20964
	v_mfma_f32_16x16x32_fp8_fp8 v[184:187], a[102:103], a[6:7], v[184:187]// 00000000558C: D3F300B8 1EE20D66
	ds_read_b128 a[56:59], v2 offset:21760                     // 000000005594: DBFE5500 38000002
	ds_read_b128 a[60:63], v2 offset:21824                     // 00000000559C: DBFE5540 3C000002
	v_mfma_f32_16x16x32_fp8_fp8 v[204:207], a[104:105], a[0:1], v[204:207]// 0000000055A4: D3F300CC 1F320168
	v_mfma_f32_16x16x32_fp8_fp8 v[204:207], a[106:107], a[2:3], v[204:207]// 0000000055AC: D3F300CC 1F32056A
	buffer_load_dwordx4 a[156:159], v61, s[84:87], 0 offen offset:1024// 0000000055B4: E05C1400 80959C3D
	v_mfma_f32_16x16x32_fp8_fp8 v[204:207], a[108:109], a[4:5], v[204:207]// 0000000055BC: D3F300CC 1F32096C
	v_mfma_f32_16x16x32_fp8_fp8 v[204:207], a[110:111], a[6:7], v[204:207]// 0000000055C4: D3F300CC 1F320D6E
	ds_read_b128 a[64:67], v2 offset:22272                     // 0000000055CC: DBFE5700 40000002
	ds_read_b128 a[68:71], v2 offset:22336                     // 0000000055D4: DBFE5740 44000002
	v_mfma_f32_16x16x32_fp8_fp8 v[148:151], a[80:81], a[8:9], v[148:151]// 0000000055DC: D3F30094 1E521150
	v_mfma_f32_16x16x32_fp8_fp8 v[148:151], a[82:83], a[10:11], v[148:151]// 0000000055E4: D3F30094 1E521552
	buffer_load_dwordx4 a[160:163], v62, s[84:87], 0 offen     // 0000000055EC: E05C1000 8095A03E
	v_mfma_f32_16x16x32_fp8_fp8 v[148:151], a[84:85], a[12:13], v[148:151]// 0000000055F4: D3F30094 1E521954
	v_mfma_f32_16x16x32_fp8_fp8 v[148:151], a[86:87], a[14:15], v[148:151]// 0000000055FC: D3F30094 1E521D56
	ds_read_b128 a[72:75], v2 offset:22784                     // 000000005604: DBFE5900 48000002
	ds_read_b128 a[76:79], v2 offset:22848                     // 00000000560C: DBFE5940 4C000002
	v_mfma_f32_16x16x32_fp8_fp8 v[168:171], a[88:89], a[8:9], v[168:171]// 000000005614: D3F300A8 1EA21158
	v_mfma_f32_16x16x32_fp8_fp8 v[168:171], a[90:91], a[10:11], v[168:171]// 00000000561C: D3F300A8 1EA2155A
	buffer_load_dwordx4 a[164:167], v62, s[84:87], 0 offen offset:1024// 000000005624: E05C1400 8095A43E
	v_mfma_f32_16x16x32_fp8_fp8 v[168:171], a[92:93], a[12:13], v[168:171]// 00000000562C: D3F300A8 1EA2195C
	v_mfma_f32_16x16x32_fp8_fp8 v[168:171], a[94:95], a[14:15], v[168:171]// 000000005634: D3F300A8 1EA21D5E
	v_mfma_f32_16x16x32_fp8_fp8 v[188:191], a[96:97], a[8:9], v[188:191]// 00000000563C: D3F300BC 1EF21160
	v_mfma_f32_16x16x32_fp8_fp8 v[188:191], a[98:99], a[10:11], v[188:191]// 000000005644: D3F300BC 1EF21562
	buffer_load_dwordx4 a[168:171], v63, s[84:87], 0 offen     // 00000000564C: E05C1000 8095A83F
	v_mfma_f32_16x16x32_fp8_fp8 v[188:191], a[100:101], a[12:13], v[188:191]// 000000005654: D3F300BC 1EF21964
	v_mfma_f32_16x16x32_fp8_fp8 v[188:191], a[102:103], a[14:15], v[188:191]// 00000000565C: D3F300BC 1EF21D66
	v_mfma_f32_16x16x32_fp8_fp8 v[208:211], a[104:105], a[8:9], v[208:211]// 000000005664: D3F300D0 1F421168
	v_mfma_f32_16x16x32_fp8_fp8 v[208:211], a[106:107], a[10:11], v[208:211]// 00000000566C: D3F300D0 1F42156A
	buffer_load_dwordx4 a[172:175], v63, s[84:87], 0 offen offset:1024// 000000005674: E05C1400 8095AC3F
	v_mfma_f32_16x16x32_fp8_fp8 v[208:211], a[108:109], a[12:13], v[208:211]// 00000000567C: D3F300D0 1F42196C
	v_mfma_f32_16x16x32_fp8_fp8 v[208:211], a[110:111], a[14:15], v[208:211]// 000000005684: D3F300D0 1F421D6E
	v_mfma_f32_16x16x32_fp8_fp8 v[152:155], a[80:81], a[16:17], v[152:155]// 00000000568C: D3F30098 1E622150
	v_mfma_f32_16x16x32_fp8_fp8 v[152:155], a[82:83], a[18:19], v[152:155]// 000000005694: D3F30098 1E622552
	v_mfma_f32_16x16x32_fp8_fp8 v[152:155], a[84:85], a[20:21], v[152:155]// 00000000569C: D3F30098 1E622954
	v_mfma_f32_16x16x32_fp8_fp8 v[152:155], a[86:87], a[22:23], v[152:155]// 0000000056A4: D3F30098 1E622D56
	v_mfma_f32_16x16x32_fp8_fp8 v[172:175], a[88:89], a[16:17], v[172:175]// 0000000056AC: D3F300AC 1EB22158
	v_mfma_f32_16x16x32_fp8_fp8 v[172:175], a[90:91], a[18:19], v[172:175]// 0000000056B4: D3F300AC 1EB2255A
	v_mfma_f32_16x16x32_fp8_fp8 v[172:175], a[92:93], a[20:21], v[172:175]// 0000000056BC: D3F300AC 1EB2295C
	v_mfma_f32_16x16x32_fp8_fp8 v[172:175], a[94:95], a[22:23], v[172:175]// 0000000056C4: D3F300AC 1EB22D5E
	v_mfma_f32_16x16x32_fp8_fp8 v[192:195], a[96:97], a[16:17], v[192:195]// 0000000056CC: D3F300C0 1F022160
	v_mfma_f32_16x16x32_fp8_fp8 v[192:195], a[98:99], a[18:19], v[192:195]// 0000000056D4: D3F300C0 1F022562
	v_mfma_f32_16x16x32_fp8_fp8 v[192:195], a[100:101], a[20:21], v[192:195]// 0000000056DC: D3F300C0 1F022964
	v_mfma_f32_16x16x32_fp8_fp8 v[192:195], a[102:103], a[22:23], v[192:195]// 0000000056E4: D3F300C0 1F022D66
	v_mfma_f32_16x16x32_fp8_fp8 v[212:215], a[104:105], a[16:17], v[212:215]// 0000000056EC: D3F300D4 1F522168
	v_mfma_f32_16x16x32_fp8_fp8 v[212:215], a[106:107], a[18:19], v[212:215]// 0000000056F4: D3F300D4 1F52256A
	v_mfma_f32_16x16x32_fp8_fp8 v[212:215], a[108:109], a[20:21], v[212:215]// 0000000056FC: D3F300D4 1F52296C
	v_mfma_f32_16x16x32_fp8_fp8 v[212:215], a[110:111], a[22:23], v[212:215]// 000000005704: D3F300D4 1F522D6E
	v_mfma_f32_16x16x32_fp8_fp8 v[156:159], a[80:81], a[24:25], v[156:159]// 00000000570C: D3F3009C 1E723150
	v_mfma_f32_16x16x32_fp8_fp8 v[156:159], a[82:83], a[26:27], v[156:159]// 000000005714: D3F3009C 1E723552
	v_mfma_f32_16x16x32_fp8_fp8 v[156:159], a[84:85], a[28:29], v[156:159]// 00000000571C: D3F3009C 1E723954
	v_mfma_f32_16x16x32_fp8_fp8 v[156:159], a[86:87], a[30:31], v[156:159]// 000000005724: D3F3009C 1E723D56
	v_mfma_f32_16x16x32_fp8_fp8 v[176:179], a[88:89], a[24:25], v[176:179]// 00000000572C: D3F300B0 1EC23158
	v_mfma_f32_16x16x32_fp8_fp8 v[176:179], a[90:91], a[26:27], v[176:179]// 000000005734: D3F300B0 1EC2355A
	v_mfma_f32_16x16x32_fp8_fp8 v[176:179], a[92:93], a[28:29], v[176:179]// 00000000573C: D3F300B0 1EC2395C
	v_mfma_f32_16x16x32_fp8_fp8 v[176:179], a[94:95], a[30:31], v[176:179]// 000000005744: D3F300B0 1EC23D5E
	v_mfma_f32_16x16x32_fp8_fp8 v[196:199], a[96:97], a[24:25], v[196:199]// 00000000574C: D3F300C4 1F123160
	v_mfma_f32_16x16x32_fp8_fp8 v[196:199], a[98:99], a[26:27], v[196:199]// 000000005754: D3F300C4 1F123562
	v_mfma_f32_16x16x32_fp8_fp8 v[196:199], a[100:101], a[28:29], v[196:199]// 00000000575C: D3F300C4 1F123964
	v_mfma_f32_16x16x32_fp8_fp8 v[196:199], a[102:103], a[30:31], v[196:199]// 000000005764: D3F300C4 1F123D66
	v_mfma_f32_16x16x32_fp8_fp8 v[216:219], a[104:105], a[24:25], v[216:219]// 00000000576C: D3F300D8 1F623168
	v_mfma_f32_16x16x32_fp8_fp8 v[216:219], a[106:107], a[26:27], v[216:219]// 000000005774: D3F300D8 1F62356A
	v_mfma_f32_16x16x32_fp8_fp8 v[216:219], a[108:109], a[28:29], v[216:219]// 00000000577C: D3F300D8 1F62396C
	v_mfma_f32_16x16x32_fp8_fp8 v[216:219], a[110:111], a[30:31], v[216:219]// 000000005784: D3F300D8 1F623D6E
	v_mfma_f32_16x16x32_fp8_fp8 v[160:163], a[80:81], a[32:33], v[160:163]// 00000000578C: D3F300A0 1E824150
	v_mfma_f32_16x16x32_fp8_fp8 v[160:163], a[82:83], a[34:35], v[160:163]// 000000005794: D3F300A0 1E824552
	v_mfma_f32_16x16x32_fp8_fp8 v[160:163], a[84:85], a[36:37], v[160:163]// 00000000579C: D3F300A0 1E824954
	v_mfma_f32_16x16x32_fp8_fp8 v[160:163], a[86:87], a[38:39], v[160:163]// 0000000057A4: D3F300A0 1E824D56
	v_mfma_f32_16x16x32_fp8_fp8 v[180:183], a[88:89], a[32:33], v[180:183]// 0000000057AC: D3F300B4 1ED24158
	v_mfma_f32_16x16x32_fp8_fp8 v[180:183], a[90:91], a[34:35], v[180:183]// 0000000057B4: D3F300B4 1ED2455A
	v_mfma_f32_16x16x32_fp8_fp8 v[180:183], a[92:93], a[36:37], v[180:183]// 0000000057BC: D3F300B4 1ED2495C
	v_mfma_f32_16x16x32_fp8_fp8 v[180:183], a[94:95], a[38:39], v[180:183]// 0000000057C4: D3F300B4 1ED24D5E
	v_mfma_f32_16x16x32_fp8_fp8 v[200:203], a[96:97], a[32:33], v[200:203]// 0000000057CC: D3F300C8 1F224160
	s_add_u32 s60, 0x180, s80                                  // 0000000057D4: 803C50FF 00000180
	s_cmp_lt_u32 s60, s81                                      // 0000000057DC: BF0A513C
	s_cselect_b32 s57, s57, 0                                  // 0000000057E0: 85398039
	v_mfma_f32_16x16x32_fp8_fp8 v[200:203], a[98:99], a[34:35], v[200:203]// 0000000057E4: D3F300C8 1F224562
	s_add_u32 s60, 0x100, s80                                  // 0000000057EC: 803C50FF 00000100
	s_cmp_lt_u32 s60, s81                                      // 0000000057F4: BF0A513C
	s_cselect_b32 s58, s58, 0                                  // 0000000057F8: 853A803A
	v_mfma_f32_16x16x32_fp8_fp8 v[200:203], a[100:101], a[36:37], v[200:203]// 0000000057FC: D3F300C8 1F224964
	s_add_u32 s60, 0x100, s80                                  // 000000005804: 803C50FF 00000100
	s_cmp_lt_u32 s60, s81                                      // 00000000580C: BF0A513C
	s_cselect_b32 s83, s83, 0                                  // 000000005810: 85538053
	v_mfma_f32_16x16x32_fp8_fp8 v[200:203], a[102:103], a[38:39], v[200:203]// 000000005814: D3F300C8 1F224D66
	s_add_u32 s24, s58, s24                                    // 00000000581C: 8018183A
	s_addc_u32 s25, 0, s25                                     // 000000005820: 82191980
	v_mfma_f32_16x16x32_fp8_fp8 v[220:223], a[104:105], a[32:33], v[220:223]// 000000005824: D3F300DC 1F724168
	s_add_u32 s20, s57, s20                                    // 00000000582C: 80141439
	s_addc_u32 s21, 0, s21                                     // 000000005830: 82151580
	v_mfma_f32_16x16x32_fp8_fp8 v[220:223], a[106:107], a[34:35], v[220:223]// 000000005834: D3F300DC 1F72456A
	s_add_u32 s84, s83, s84                                    // 00000000583C: 80545453
	s_addc_u32 s85, 0, s85                                     // 000000005840: 82555580
	v_mfma_f32_16x16x32_fp8_fp8 v[220:223], a[108:109], a[36:37], v[220:223]// 000000005844: D3F300DC 1F72496C
	v_mfma_f32_16x16x32_fp8_fp8 v[220:223], a[110:111], a[38:39], v[220:223]// 00000000584C: D3F300DC 1F724D6E
	s_addk_i32 s80, 0x80                                       // 000000005854: B7500080
	s_cmp_lt_i32 s80, s81                                      // 000000005858: BF045150
	s_cbranch_scc0 label_0D4C                                  // 00000000585C: BF8401B4
	s_waitcnt vmcnt(18) lgkmcnt(0)                             // 000000005860: BF8C4072
	v_mfma_f32_16x16x32_fp8_fp8 v[64:67], a[112:113], a[40:41], v[64:67]// 000000005864: D3F30040 1D025170
	v_mfma_f32_16x16x32_fp8_fp8 v[64:67], a[114:115], a[42:43], v[64:67]// 00000000586C: D3F30040 1D025572
	buffer_load_dwordx4 a[80:83], v60, s[24:27], 0 offen       // 000000005874: E05C1000 8086503C
	v_mfma_f32_16x16x32_fp8_fp8 v[64:67], a[116:117], a[44:45], v[64:67]// 00000000587C: D3F30040 1D025974
	v_mfma_f32_16x16x32_fp8_fp8 v[64:67], a[118:119], a[46:47], v[64:67]// 000000005884: D3F30040 1D025D76
	v_mfma_f32_16x16x32_fp8_fp8 v[84:87], a[120:121], a[40:41], v[84:87]// 00000000588C: D3F30054 1D525178
	v_mfma_f32_16x16x32_fp8_fp8 v[84:87], a[122:123], a[42:43], v[84:87]// 000000005894: D3F30054 1D52557A
	buffer_load_dwordx4 a[84:87], v60, s[24:27], 0 offen offset:1024// 00000000589C: E05C1400 8086543C
	v_mfma_f32_16x16x32_fp8_fp8 v[84:87], a[124:125], a[44:45], v[84:87]// 0000000058A4: D3F30054 1D52597C
	v_mfma_f32_16x16x32_fp8_fp8 v[84:87], a[126:127], a[46:47], v[84:87]// 0000000058AC: D3F30054 1D525D7E
	v_mfma_f32_16x16x32_fp8_fp8 v[104:107], a[128:129], a[40:41], v[104:107]// 0000000058B4: D3F30068 1DA25180
	v_mfma_f32_16x16x32_fp8_fp8 v[104:107], a[130:131], a[42:43], v[104:107]// 0000000058BC: D3F30068 1DA25582
	buffer_load_dwordx4 a[88:91], v61, s[24:27], 0 offen       // 0000000058C4: E05C1000 8086583D
	v_mfma_f32_16x16x32_fp8_fp8 v[104:107], a[132:133], a[44:45], v[104:107]// 0000000058CC: D3F30068 1DA25984
	v_mfma_f32_16x16x32_fp8_fp8 v[104:107], a[134:135], a[46:47], v[104:107]// 0000000058D4: D3F30068 1DA25D86
	v_mfma_f32_16x16x32_fp8_fp8 v[124:127], a[136:137], a[40:41], v[124:127]// 0000000058DC: D3F3007C 1DF25188
	v_mfma_f32_16x16x32_fp8_fp8 v[124:127], a[138:139], a[42:43], v[124:127]// 0000000058E4: D3F3007C 1DF2558A
	buffer_load_dwordx4 a[92:95], v61, s[24:27], 0 offen offset:1024// 0000000058EC: E05C1400 80865C3D
	v_mfma_f32_16x16x32_fp8_fp8 v[124:127], a[140:141], a[44:45], v[124:127]// 0000000058F4: D3F3007C 1DF2598C
	v_mfma_f32_16x16x32_fp8_fp8 v[124:127], a[142:143], a[46:47], v[124:127]// 0000000058FC: D3F3007C 1DF25D8E
	v_mfma_f32_16x16x32_fp8_fp8 v[68:71], a[112:113], a[48:49], v[68:71]// 000000005904: D3F30044 1D126170
	v_mfma_f32_16x16x32_fp8_fp8 v[68:71], a[114:115], a[50:51], v[68:71]// 00000000590C: D3F30044 1D126572
	buffer_load_dwordx4 a[96:99], v62, s[24:27], 0 offen       // 000000005914: E05C1000 8086603E
	v_mfma_f32_16x16x32_fp8_fp8 v[68:71], a[116:117], a[52:53], v[68:71]// 00000000591C: D3F30044 1D126974
	v_mfma_f32_16x16x32_fp8_fp8 v[68:71], a[118:119], a[54:55], v[68:71]// 000000005924: D3F30044 1D126D76
	v_mfma_f32_16x16x32_fp8_fp8 v[88:91], a[120:121], a[48:49], v[88:91]// 00000000592C: D3F30058 1D626178
	v_mfma_f32_16x16x32_fp8_fp8 v[88:91], a[122:123], a[50:51], v[88:91]// 000000005934: D3F30058 1D62657A
	buffer_load_dwordx4 a[100:103], v62, s[24:27], 0 offen offset:1024// 00000000593C: E05C1400 8086643E
	v_mfma_f32_16x16x32_fp8_fp8 v[88:91], a[124:125], a[52:53], v[88:91]// 000000005944: D3F30058 1D62697C
	v_mfma_f32_16x16x32_fp8_fp8 v[88:91], a[126:127], a[54:55], v[88:91]// 00000000594C: D3F30058 1D626D7E
	v_mfma_f32_16x16x32_fp8_fp8 v[108:111], a[128:129], a[48:49], v[108:111]// 000000005954: D3F3006C 1DB26180
	v_mfma_f32_16x16x32_fp8_fp8 v[108:111], a[130:131], a[50:51], v[108:111]// 00000000595C: D3F3006C 1DB26582
	buffer_load_dwordx4 a[104:107], v63, s[24:27], 0 offen     // 000000005964: E05C1000 8086683F
	v_mfma_f32_16x16x32_fp8_fp8 v[108:111], a[132:133], a[52:53], v[108:111]// 00000000596C: D3F3006C 1DB26984
	v_mfma_f32_16x16x32_fp8_fp8 v[108:111], a[134:135], a[54:55], v[108:111]// 000000005974: D3F3006C 1DB26D86
	v_mfma_f32_16x16x32_fp8_fp8 v[128:131], a[136:137], a[48:49], v[128:131]// 00000000597C: D3F30080 1E026188
	v_mfma_f32_16x16x32_fp8_fp8 v[128:131], a[138:139], a[50:51], v[128:131]// 000000005984: D3F30080 1E02658A
	buffer_load_dwordx4 a[108:111], v63, s[24:27], 0 offen offset:1024// 00000000598C: E05C1400 80866C3F
	buffer_load_dword v50, s[20:23], 0 offen lds               // 000000005994: E0511000 80050032
	s_add_u32 m0, 0x100, s49                                   // 00000000599C: 807C31FF 00000100
	v_mfma_f32_16x16x32_fp8_fp8 v[128:131], a[140:141], a[52:53], v[128:131]// 0000000059A4: D3F30080 1E02698C
	v_mfma_f32_16x16x32_fp8_fp8 v[128:131], a[142:143], a[54:55], v[128:131]// 0000000059AC: D3F30080 1E026D8E
	buffer_load_dword v51, s[20:23], 0 offen lds               // 0000000059B4: E0511000 80050033
	s_add_u32 m0, 0x200, s49                                   // 0000000059BC: 807C31FF 00000200
	v_mfma_f32_16x16x32_fp8_fp8 v[72:75], a[112:113], a[56:57], v[72:75]// 0000000059C4: D3F30048 1D227170
	v_mfma_f32_16x16x32_fp8_fp8 v[72:75], a[114:115], a[58:59], v[72:75]// 0000000059CC: D3F30048 1D227572
	buffer_load_dword v52, s[20:23], 0 offen lds               // 0000000059D4: E0511000 80050034
	s_add_u32 m0, 0x300, s49                                   // 0000000059DC: 807C31FF 00000300
	v_mfma_f32_16x16x32_fp8_fp8 v[72:75], a[116:117], a[60:61], v[72:75]// 0000000059E4: D3F30048 1D227974
	v_mfma_f32_16x16x32_fp8_fp8 v[72:75], a[118:119], a[62:63], v[72:75]// 0000000059EC: D3F30048 1D227D76
	buffer_load_dword v53, s[20:23], 0 offen lds               // 0000000059F4: E0511000 80050035
	s_add_u32 m0, 0x400, s49                                   // 0000000059FC: 807C31FF 00000400
	v_mfma_f32_16x16x32_fp8_fp8 v[92:95], a[120:121], a[56:57], v[92:95]// 000000005A04: D3F3005C 1D727178
	v_mfma_f32_16x16x32_fp8_fp8 v[92:95], a[122:123], a[58:59], v[92:95]// 000000005A0C: D3F3005C 1D72757A
	buffer_load_dword v54, s[20:23], 0 offen lds               // 000000005A14: E0511000 80050036
	s_add_u32 m0, 0x500, s49                                   // 000000005A1C: 807C31FF 00000500
	v_mfma_f32_16x16x32_fp8_fp8 v[92:95], a[124:125], a[60:61], v[92:95]// 000000005A24: D3F3005C 1D72797C
	v_mfma_f32_16x16x32_fp8_fp8 v[92:95], a[126:127], a[62:63], v[92:95]// 000000005A2C: D3F3005C 1D727D7E
	buffer_load_dword v55, s[20:23], 0 offen lds               // 000000005A34: E0511000 80050037
	s_add_u32 m0, 0x600, s49                                   // 000000005A3C: 807C31FF 00000600
	v_mfma_f32_16x16x32_fp8_fp8 v[112:115], a[128:129], a[56:57], v[112:115]// 000000005A44: D3F30070 1DC27180
	v_mfma_f32_16x16x32_fp8_fp8 v[112:115], a[130:131], a[58:59], v[112:115]// 000000005A4C: D3F30070 1DC27582
	buffer_load_dword v56, s[20:23], 0 offen lds               // 000000005A54: E0511000 80050038
	s_add_u32 m0, 0x700, s49                                   // 000000005A5C: 807C31FF 00000700
	v_mfma_f32_16x16x32_fp8_fp8 v[112:115], a[132:133], a[60:61], v[112:115]// 000000005A64: D3F30070 1DC27984
	v_mfma_f32_16x16x32_fp8_fp8 v[112:115], a[134:135], a[62:63], v[112:115]// 000000005A6C: D3F30070 1DC27D86
	buffer_load_dword v57, s[20:23], 0 offen lds               // 000000005A74: E0511000 80050039
	s_add_u32 m0, 0x800, s49                                   // 000000005A7C: 807C31FF 00000800
	v_mfma_f32_16x16x32_fp8_fp8 v[132:135], a[136:137], a[56:57], v[132:135]// 000000005A84: D3F30084 1E127188
	v_mfma_f32_16x16x32_fp8_fp8 v[132:135], a[138:139], a[58:59], v[132:135]// 000000005A8C: D3F30084 1E12758A
	buffer_load_dword v58, s[20:23], 0 offen lds               // 000000005A94: E0511000 8005003A
	s_add_u32 m0, 0x900, s49                                   // 000000005A9C: 807C31FF 00000900
	v_mfma_f32_16x16x32_fp8_fp8 v[132:135], a[140:141], a[60:61], v[132:135]// 000000005AA4: D3F30084 1E12798C
	v_mfma_f32_16x16x32_fp8_fp8 v[132:135], a[142:143], a[62:63], v[132:135]// 000000005AAC: D3F30084 1E127D8E
	buffer_load_dword v59, s[20:23], 0 offen lds               // 000000005AB4: E0511000 8005003B
	s_add_u32 m0, 0, s50                                       // 000000005ABC: 807C3280
	v_mfma_f32_16x16x32_fp8_fp8 v[76:79], a[112:113], a[64:65], v[76:79]// 000000005AC0: D3F3004C 1D328170
	v_mfma_f32_16x16x32_fp8_fp8 v[76:79], a[114:115], a[66:67], v[76:79]// 000000005AC8: D3F3004C 1D328572
	v_mfma_f32_16x16x32_fp8_fp8 v[76:79], a[116:117], a[68:69], v[76:79]// 000000005AD0: D3F3004C 1D328974
	v_mfma_f32_16x16x32_fp8_fp8 v[76:79], a[118:119], a[70:71], v[76:79]// 000000005AD8: D3F3004C 1D328D76
	v_mfma_f32_16x16x32_fp8_fp8 v[96:99], a[120:121], a[64:65], v[96:99]// 000000005AE0: D3F30060 1D828178
	v_mfma_f32_16x16x32_fp8_fp8 v[96:99], a[122:123], a[66:67], v[96:99]// 000000005AE8: D3F30060 1D82857A
	v_mfma_f32_16x16x32_fp8_fp8 v[96:99], a[124:125], a[68:69], v[96:99]// 000000005AF0: D3F30060 1D82897C
	v_mfma_f32_16x16x32_fp8_fp8 v[96:99], a[126:127], a[70:71], v[96:99]// 000000005AF8: D3F30060 1D828D7E
	v_mfma_f32_16x16x32_fp8_fp8 v[116:119], a[128:129], a[64:65], v[116:119]// 000000005B00: D3F30074 1DD28180
	v_mfma_f32_16x16x32_fp8_fp8 v[116:119], a[130:131], a[66:67], v[116:119]// 000000005B08: D3F30074 1DD28582
	v_mfma_f32_16x16x32_fp8_fp8 v[116:119], a[132:133], a[68:69], v[116:119]// 000000005B10: D3F30074 1DD28984
	v_mfma_f32_16x16x32_fp8_fp8 v[116:119], a[134:135], a[70:71], v[116:119]// 000000005B18: D3F30074 1DD28D86
	v_mfma_f32_16x16x32_fp8_fp8 v[136:139], a[136:137], a[64:65], v[136:139]// 000000005B20: D3F30088 1E228188
	v_mfma_f32_16x16x32_fp8_fp8 v[136:139], a[138:139], a[66:67], v[136:139]// 000000005B28: D3F30088 1E22858A
	v_mfma_f32_16x16x32_fp8_fp8 v[136:139], a[140:141], a[68:69], v[136:139]// 000000005B30: D3F30088 1E22898C
	v_mfma_f32_16x16x32_fp8_fp8 v[136:139], a[142:143], a[70:71], v[136:139]// 000000005B38: D3F30088 1E228D8E
	v_mfma_f32_16x16x32_fp8_fp8 v[80:83], a[112:113], a[72:73], v[80:83]// 000000005B40: D3F30050 1D429170
	v_mfma_f32_16x16x32_fp8_fp8 v[80:83], a[114:115], a[74:75], v[80:83]// 000000005B48: D3F30050 1D429572
	v_mfma_f32_16x16x32_fp8_fp8 v[80:83], a[116:117], a[76:77], v[80:83]// 000000005B50: D3F30050 1D429974
	v_mfma_f32_16x16x32_fp8_fp8 v[80:83], a[118:119], a[78:79], v[80:83]// 000000005B58: D3F30050 1D429D76
	v_mfma_f32_16x16x32_fp8_fp8 v[100:103], a[120:121], a[72:73], v[100:103]// 000000005B60: D3F30064 1D929178
	v_mfma_f32_16x16x32_fp8_fp8 v[100:103], a[122:123], a[74:75], v[100:103]// 000000005B68: D3F30064 1D92957A
	v_mfma_f32_16x16x32_fp8_fp8 v[100:103], a[124:125], a[76:77], v[100:103]// 000000005B70: D3F30064 1D92997C
	v_mfma_f32_16x16x32_fp8_fp8 v[100:103], a[126:127], a[78:79], v[100:103]// 000000005B78: D3F30064 1D929D7E
	v_mfma_f32_16x16x32_fp8_fp8 v[120:123], a[128:129], a[72:73], v[120:123]// 000000005B80: D3F30078 1DE29180
	v_mfma_f32_16x16x32_fp8_fp8 v[120:123], a[130:131], a[74:75], v[120:123]// 000000005B88: D3F30078 1DE29582
	v_mfma_f32_16x16x32_fp8_fp8 v[120:123], a[132:133], a[76:77], v[120:123]// 000000005B90: D3F30078 1DE29984
	v_mfma_f32_16x16x32_fp8_fp8 v[120:123], a[134:135], a[78:79], v[120:123]// 000000005B98: D3F30078 1DE29D86
	v_mfma_f32_16x16x32_fp8_fp8 v[140:143], a[136:137], a[72:73], v[140:143]// 000000005BA0: D3F3008C 1E329188
	v_mfma_f32_16x16x32_fp8_fp8 v[140:143], a[138:139], a[74:75], v[140:143]// 000000005BA8: D3F3008C 1E32958A
	v_mfma_f32_16x16x32_fp8_fp8 v[140:143], a[140:141], a[76:77], v[140:143]// 000000005BB0: D3F3008C 1E32998C
	v_mfma_f32_16x16x32_fp8_fp8 v[140:143], a[142:143], a[78:79], v[140:143]// 000000005BB8: D3F3008C 1E329D8E
	s_waitcnt vmcnt(18)                                        // 000000005BC0: BF8C4F72
	s_barrier                                                  // 000000005BC4: BF8A0000
	v_mfma_f32_16x16x32_fp8_fp8 v[144:147], a[144:145], a[40:41], v[144:147]// 000000005BC8: D3F30090 1E425190
	v_mfma_f32_16x16x32_fp8_fp8 v[144:147], a[146:147], a[42:43], v[144:147]// 000000005BD0: D3F30090 1E425592
	buffer_load_dwordx4 a[112:115], v60, s[84:87], 0 offen     // 000000005BD8: E05C1000 8095703C
	v_mfma_f32_16x16x32_fp8_fp8 v[144:147], a[148:149], a[44:45], v[144:147]// 000000005BE0: D3F30090 1E425994
	v_mfma_f32_16x16x32_fp8_fp8 v[144:147], a[150:151], a[46:47], v[144:147]// 000000005BE8: D3F30090 1E425D96
	ds_read_b128 a[0:3], v2                                    // 000000005BF0: DBFE0000 00000002
	ds_read_b128 a[4:7], v2 offset:64                          // 000000005BF8: DBFE0040 04000002
	v_mfma_f32_16x16x32_fp8_fp8 v[164:167], a[152:153], a[40:41], v[164:167]// 000000005C00: D3F300A4 1E925198
	v_mfma_f32_16x16x32_fp8_fp8 v[164:167], a[154:155], a[42:43], v[164:167]// 000000005C08: D3F300A4 1E92559A
	buffer_load_dwordx4 a[116:119], v60, s[84:87], 0 offen offset:1024// 000000005C10: E05C1400 8095743C
	v_mfma_f32_16x16x32_fp8_fp8 v[164:167], a[156:157], a[44:45], v[164:167]// 000000005C18: D3F300A4 1E92599C
	v_mfma_f32_16x16x32_fp8_fp8 v[164:167], a[158:159], a[46:47], v[164:167]// 000000005C20: D3F300A4 1E925D9E
	ds_read_b128 a[8:11], v2 offset:512                        // 000000005C28: DBFE0200 08000002
	ds_read_b128 a[12:15], v2 offset:576                       // 000000005C30: DBFE0240 0C000002
	v_mfma_f32_16x16x32_fp8_fp8 v[184:187], a[160:161], a[40:41], v[184:187]// 000000005C38: D3F300B8 1EE251A0
	v_mfma_f32_16x16x32_fp8_fp8 v[184:187], a[162:163], a[42:43], v[184:187]// 000000005C40: D3F300B8 1EE255A2
	buffer_load_dwordx4 a[120:123], v61, s[84:87], 0 offen     // 000000005C48: E05C1000 8095783D
	v_mfma_f32_16x16x32_fp8_fp8 v[184:187], a[164:165], a[44:45], v[184:187]// 000000005C50: D3F300B8 1EE259A4
	v_mfma_f32_16x16x32_fp8_fp8 v[184:187], a[166:167], a[46:47], v[184:187]// 000000005C58: D3F300B8 1EE25DA6
	ds_read_b128 a[16:19], v2 offset:1024                      // 000000005C60: DBFE0400 10000002
	ds_read_b128 a[20:23], v2 offset:1088                      // 000000005C68: DBFE0440 14000002
	v_mfma_f32_16x16x32_fp8_fp8 v[204:207], a[168:169], a[40:41], v[204:207]// 000000005C70: D3F300CC 1F3251A8
	v_mfma_f32_16x16x32_fp8_fp8 v[204:207], a[170:171], a[42:43], v[204:207]// 000000005C78: D3F300CC 1F3255AA
	buffer_load_dwordx4 a[124:127], v61, s[84:87], 0 offen offset:1024// 000000005C80: E05C1400 80957C3D
	v_mfma_f32_16x16x32_fp8_fp8 v[204:207], a[172:173], a[44:45], v[204:207]// 000000005C88: D3F300CC 1F3259AC
	v_mfma_f32_16x16x32_fp8_fp8 v[204:207], a[174:175], a[46:47], v[204:207]// 000000005C90: D3F300CC 1F325DAE
	ds_read_b128 a[24:27], v2 offset:1536                      // 000000005C98: DBFE0600 18000002
	ds_read_b128 a[28:31], v2 offset:1600                      // 000000005CA0: DBFE0640 1C000002
	v_mfma_f32_16x16x32_fp8_fp8 v[148:151], a[144:145], a[48:49], v[148:151]// 000000005CA8: D3F30094 1E526190
	v_mfma_f32_16x16x32_fp8_fp8 v[148:151], a[146:147], a[50:51], v[148:151]// 000000005CB0: D3F30094 1E526592
	buffer_load_dwordx4 a[128:131], v62, s[84:87], 0 offen     // 000000005CB8: E05C1000 8095803E
	v_mfma_f32_16x16x32_fp8_fp8 v[148:151], a[148:149], a[52:53], v[148:151]// 000000005CC0: D3F30094 1E526994
	v_mfma_f32_16x16x32_fp8_fp8 v[148:151], a[150:151], a[54:55], v[148:151]// 000000005CC8: D3F30094 1E526D96
	ds_read_b128 a[32:35], v2 offset:2048                      // 000000005CD0: DBFE0800 20000002
	ds_read_b128 a[36:39], v2 offset:2112                      // 000000005CD8: DBFE0840 24000002
	v_mfma_f32_16x16x32_fp8_fp8 v[168:171], a[152:153], a[48:49], v[168:171]// 000000005CE0: D3F300A8 1EA26198
	v_mfma_f32_16x16x32_fp8_fp8 v[168:171], a[154:155], a[50:51], v[168:171]// 000000005CE8: D3F300A8 1EA2659A
	buffer_load_dwordx4 a[132:135], v62, s[84:87], 0 offen offset:1024// 000000005CF0: E05C1400 8095843E
	v_mfma_f32_16x16x32_fp8_fp8 v[168:171], a[156:157], a[52:53], v[168:171]// 000000005CF8: D3F300A8 1EA2699C
	v_mfma_f32_16x16x32_fp8_fp8 v[168:171], a[158:159], a[54:55], v[168:171]// 000000005D00: D3F300A8 1EA26D9E
	v_mfma_f32_16x16x32_fp8_fp8 v[188:191], a[160:161], a[48:49], v[188:191]// 000000005D08: D3F300BC 1EF261A0
	v_mfma_f32_16x16x32_fp8_fp8 v[188:191], a[162:163], a[50:51], v[188:191]// 000000005D10: D3F300BC 1EF265A2
	buffer_load_dwordx4 a[136:139], v63, s[84:87], 0 offen     // 000000005D18: E05C1000 8095883F
	v_mfma_f32_16x16x32_fp8_fp8 v[188:191], a[164:165], a[52:53], v[188:191]// 000000005D20: D3F300BC 1EF269A4
	v_mfma_f32_16x16x32_fp8_fp8 v[188:191], a[166:167], a[54:55], v[188:191]// 000000005D28: D3F300BC 1EF26DA6
	v_mfma_f32_16x16x32_fp8_fp8 v[208:211], a[168:169], a[48:49], v[208:211]// 000000005D30: D3F300D0 1F4261A8
	v_mfma_f32_16x16x32_fp8_fp8 v[208:211], a[170:171], a[50:51], v[208:211]// 000000005D38: D3F300D0 1F4265AA
	buffer_load_dwordx4 a[140:143], v63, s[84:87], 0 offen offset:1024// 000000005D40: E05C1400 80958C3F
	v_mfma_f32_16x16x32_fp8_fp8 v[208:211], a[172:173], a[52:53], v[208:211]// 000000005D48: D3F300D0 1F4269AC
	v_mfma_f32_16x16x32_fp8_fp8 v[208:211], a[174:175], a[54:55], v[208:211]// 000000005D50: D3F300D0 1F426DAE
	v_mfma_f32_16x16x32_fp8_fp8 v[152:155], a[144:145], a[56:57], v[152:155]// 000000005D58: D3F30098 1E627190
	v_mfma_f32_16x16x32_fp8_fp8 v[152:155], a[146:147], a[58:59], v[152:155]// 000000005D60: D3F30098 1E627592
	v_mfma_f32_16x16x32_fp8_fp8 v[152:155], a[148:149], a[60:61], v[152:155]// 000000005D68: D3F30098 1E627994
	v_mfma_f32_16x16x32_fp8_fp8 v[152:155], a[150:151], a[62:63], v[152:155]// 000000005D70: D3F30098 1E627D96
	v_mfma_f32_16x16x32_fp8_fp8 v[172:175], a[152:153], a[56:57], v[172:175]// 000000005D78: D3F300AC 1EB27198
	v_mfma_f32_16x16x32_fp8_fp8 v[172:175], a[154:155], a[58:59], v[172:175]// 000000005D80: D3F300AC 1EB2759A
	v_mfma_f32_16x16x32_fp8_fp8 v[172:175], a[156:157], a[60:61], v[172:175]// 000000005D88: D3F300AC 1EB2799C
	v_mfma_f32_16x16x32_fp8_fp8 v[172:175], a[158:159], a[62:63], v[172:175]// 000000005D90: D3F300AC 1EB27D9E
	v_mfma_f32_16x16x32_fp8_fp8 v[192:195], a[160:161], a[56:57], v[192:195]// 000000005D98: D3F300C0 1F0271A0
	v_mfma_f32_16x16x32_fp8_fp8 v[192:195], a[162:163], a[58:59], v[192:195]// 000000005DA0: D3F300C0 1F0275A2
	v_mfma_f32_16x16x32_fp8_fp8 v[192:195], a[164:165], a[60:61], v[192:195]// 000000005DA8: D3F300C0 1F0279A4
	v_mfma_f32_16x16x32_fp8_fp8 v[192:195], a[166:167], a[62:63], v[192:195]// 000000005DB0: D3F300C0 1F027DA6
	v_mfma_f32_16x16x32_fp8_fp8 v[212:215], a[168:169], a[56:57], v[212:215]// 000000005DB8: D3F300D4 1F5271A8
	v_mfma_f32_16x16x32_fp8_fp8 v[212:215], a[170:171], a[58:59], v[212:215]// 000000005DC0: D3F300D4 1F5275AA
	v_mfma_f32_16x16x32_fp8_fp8 v[212:215], a[172:173], a[60:61], v[212:215]// 000000005DC8: D3F300D4 1F5279AC
	v_mfma_f32_16x16x32_fp8_fp8 v[212:215], a[174:175], a[62:63], v[212:215]// 000000005DD0: D3F300D4 1F527DAE
	v_mfma_f32_16x16x32_fp8_fp8 v[156:159], a[144:145], a[64:65], v[156:159]// 000000005DD8: D3F3009C 1E728190
	v_mfma_f32_16x16x32_fp8_fp8 v[156:159], a[146:147], a[66:67], v[156:159]// 000000005DE0: D3F3009C 1E728592
	v_mfma_f32_16x16x32_fp8_fp8 v[156:159], a[148:149], a[68:69], v[156:159]// 000000005DE8: D3F3009C 1E728994
	v_mfma_f32_16x16x32_fp8_fp8 v[156:159], a[150:151], a[70:71], v[156:159]// 000000005DF0: D3F3009C 1E728D96
	v_mfma_f32_16x16x32_fp8_fp8 v[176:179], a[152:153], a[64:65], v[176:179]// 000000005DF8: D3F300B0 1EC28198
	v_mfma_f32_16x16x32_fp8_fp8 v[176:179], a[154:155], a[66:67], v[176:179]// 000000005E00: D3F300B0 1EC2859A
	v_mfma_f32_16x16x32_fp8_fp8 v[176:179], a[156:157], a[68:69], v[176:179]// 000000005E08: D3F300B0 1EC2899C
	v_mfma_f32_16x16x32_fp8_fp8 v[176:179], a[158:159], a[70:71], v[176:179]// 000000005E10: D3F300B0 1EC28D9E
	v_mfma_f32_16x16x32_fp8_fp8 v[196:199], a[160:161], a[64:65], v[196:199]// 000000005E18: D3F300C4 1F1281A0
	v_mfma_f32_16x16x32_fp8_fp8 v[196:199], a[162:163], a[66:67], v[196:199]// 000000005E20: D3F300C4 1F1285A2
	v_mfma_f32_16x16x32_fp8_fp8 v[196:199], a[164:165], a[68:69], v[196:199]// 000000005E28: D3F300C4 1F1289A4
	v_mfma_f32_16x16x32_fp8_fp8 v[196:199], a[166:167], a[70:71], v[196:199]// 000000005E30: D3F300C4 1F128DA6
	v_mfma_f32_16x16x32_fp8_fp8 v[216:219], a[168:169], a[64:65], v[216:219]// 000000005E38: D3F300D8 1F6281A8
	v_mfma_f32_16x16x32_fp8_fp8 v[216:219], a[170:171], a[66:67], v[216:219]// 000000005E40: D3F300D8 1F6285AA
	v_mfma_f32_16x16x32_fp8_fp8 v[216:219], a[172:173], a[68:69], v[216:219]// 000000005E48: D3F300D8 1F6289AC
	v_mfma_f32_16x16x32_fp8_fp8 v[216:219], a[174:175], a[70:71], v[216:219]// 000000005E50: D3F300D8 1F628DAE
	v_mfma_f32_16x16x32_fp8_fp8 v[160:163], a[144:145], a[72:73], v[160:163]// 000000005E58: D3F300A0 1E829190
	v_mfma_f32_16x16x32_fp8_fp8 v[160:163], a[146:147], a[74:75], v[160:163]// 000000005E60: D3F300A0 1E829592
	v_mfma_f32_16x16x32_fp8_fp8 v[160:163], a[148:149], a[76:77], v[160:163]// 000000005E68: D3F300A0 1E829994
	v_mfma_f32_16x16x32_fp8_fp8 v[160:163], a[150:151], a[78:79], v[160:163]// 000000005E70: D3F300A0 1E829D96
	v_mfma_f32_16x16x32_fp8_fp8 v[180:183], a[152:153], a[72:73], v[180:183]// 000000005E78: D3F300B4 1ED29198
	v_mfma_f32_16x16x32_fp8_fp8 v[180:183], a[154:155], a[74:75], v[180:183]// 000000005E80: D3F300B4 1ED2959A
	v_mfma_f32_16x16x32_fp8_fp8 v[180:183], a[156:157], a[76:77], v[180:183]// 000000005E88: D3F300B4 1ED2999C
	v_mfma_f32_16x16x32_fp8_fp8 v[180:183], a[158:159], a[78:79], v[180:183]// 000000005E90: D3F300B4 1ED29D9E
	v_mfma_f32_16x16x32_fp8_fp8 v[200:203], a[160:161], a[72:73], v[200:203]// 000000005E98: D3F300C8 1F2291A0
	s_add_u32 s60, 0x180, s80                                  // 000000005EA0: 803C50FF 00000180
	s_cmp_lt_u32 s60, s81                                      // 000000005EA8: BF0A513C
	s_cselect_b32 s57, s57, 0                                  // 000000005EAC: 85398039
	v_mfma_f32_16x16x32_fp8_fp8 v[200:203], a[162:163], a[74:75], v[200:203]// 000000005EB0: D3F300C8 1F2295A2
	s_add_u32 s60, 0x100, s80                                  // 000000005EB8: 803C50FF 00000100
	s_cmp_lt_u32 s60, s81                                      // 000000005EC0: BF0A513C
	s_cselect_b32 s58, s58, 0                                  // 000000005EC4: 853A803A
	v_mfma_f32_16x16x32_fp8_fp8 v[200:203], a[164:165], a[76:77], v[200:203]// 000000005EC8: D3F300C8 1F2299A4
	s_add_u32 s60, 0x100, s80                                  // 000000005ED0: 803C50FF 00000100
	s_cmp_lt_u32 s60, s81                                      // 000000005ED8: BF0A513C
	s_cselect_b32 s83, s83, 0                                  // 000000005EDC: 85538053
	v_mfma_f32_16x16x32_fp8_fp8 v[200:203], a[166:167], a[78:79], v[200:203]// 000000005EE0: D3F300C8 1F229DA6
	s_add_u32 s24, s58, s24                                    // 000000005EE8: 8018183A
	s_addc_u32 s25, 0, s25                                     // 000000005EEC: 82191980
	v_mfma_f32_16x16x32_fp8_fp8 v[220:223], a[168:169], a[72:73], v[220:223]// 000000005EF0: D3F300DC 1F7291A8
	s_add_u32 s20, s57, s20                                    // 000000005EF8: 80141439
	s_addc_u32 s21, 0, s21                                     // 000000005EFC: 82151580
	v_mfma_f32_16x16x32_fp8_fp8 v[220:223], a[170:171], a[74:75], v[220:223]// 000000005F00: D3F300DC 1F7295AA
	s_add_u32 s84, s83, s84                                    // 000000005F08: 80545453
	s_addc_u32 s85, 0, s85                                     // 000000005F0C: 82555580
	v_mfma_f32_16x16x32_fp8_fp8 v[220:223], a[172:173], a[76:77], v[220:223]// 000000005F10: D3F300DC 1F7299AC
	v_mfma_f32_16x16x32_fp8_fp8 v[220:223], a[174:175], a[78:79], v[220:223]// 000000005F18: D3F300DC 1F729DAE
	s_addk_i32 s80, 0x80                                       // 000000005F20: B7500080
	s_cmp_lt_i32 s80, s81                                      // 000000005F24: BF045150
	s_cbranch_scc0 label_0D4C                                  // 000000005F28: BF840001
	s_branch label_0319                                        // 000000005F2C: BF82F5CD

0000000000005f30 <label_0D4C>:
	v_mul_f32_dpp v64, v24, v64 row_newbcast:0 row_mask:0xf bank_mask:0xf// 000000005F30: 0A8080FA FF015018
	v_mul_f32_dpp v65, v24, v65 row_newbcast:1 row_mask:0xf bank_mask:0xf// 000000005F38: 0A8282FA FF015118
	v_mul_f32_dpp v66, v24, v66 row_newbcast:2 row_mask:0xf bank_mask:0xf// 000000005F40: 0A8484FA FF015218
	v_mul_f32_dpp v67, v24, v67 row_newbcast:3 row_mask:0xf bank_mask:0xf// 000000005F48: 0A8686FA FF015318
	v_mul_f32_dpp v68, v24, v68 row_newbcast:0 row_mask:0xf bank_mask:0xf// 000000005F50: 0A8888FA FF015018
	v_mul_f32_dpp v69, v24, v69 row_newbcast:1 row_mask:0xf bank_mask:0xf// 000000005F58: 0A8A8AFA FF015118
	v_mul_f32_dpp v70, v24, v70 row_newbcast:2 row_mask:0xf bank_mask:0xf// 000000005F60: 0A8C8CFA FF015218
	v_mul_f32_dpp v71, v24, v71 row_newbcast:3 row_mask:0xf bank_mask:0xf// 000000005F68: 0A8E8EFA FF015318
	v_mul_f32_dpp v72, v24, v72 row_newbcast:0 row_mask:0xf bank_mask:0xf// 000000005F70: 0A9090FA FF015018
	v_mul_f32_dpp v73, v24, v73 row_newbcast:1 row_mask:0xf bank_mask:0xf// 000000005F78: 0A9292FA FF015118
	v_mul_f32_dpp v74, v24, v74 row_newbcast:2 row_mask:0xf bank_mask:0xf// 000000005F80: 0A9494FA FF015218
	v_mul_f32_dpp v75, v24, v75 row_newbcast:3 row_mask:0xf bank_mask:0xf// 000000005F88: 0A9696FA FF015318
	v_mul_f32_dpp v76, v24, v76 row_newbcast:0 row_mask:0xf bank_mask:0xf// 000000005F90: 0A9898FA FF015018
	v_mul_f32_dpp v77, v24, v77 row_newbcast:1 row_mask:0xf bank_mask:0xf// 000000005F98: 0A9A9AFA FF015118
	v_mul_f32_dpp v78, v24, v78 row_newbcast:2 row_mask:0xf bank_mask:0xf// 000000005FA0: 0A9C9CFA FF015218
	v_mul_f32_dpp v79, v24, v79 row_newbcast:3 row_mask:0xf bank_mask:0xf// 000000005FA8: 0A9E9EFA FF015318
	v_mul_f32_dpp v80, v24, v80 row_newbcast:0 row_mask:0xf bank_mask:0xf// 000000005FB0: 0AA0A0FA FF015018
	v_mul_f32_dpp v81, v24, v81 row_newbcast:1 row_mask:0xf bank_mask:0xf// 000000005FB8: 0AA2A2FA FF015118
	v_mul_f32_dpp v82, v24, v82 row_newbcast:2 row_mask:0xf bank_mask:0xf// 000000005FC0: 0AA4A4FA FF015218
	v_mul_f32_dpp v83, v24, v83 row_newbcast:3 row_mask:0xf bank_mask:0xf// 000000005FC8: 0AA6A6FA FF015318
	v_mul_f32_dpp v84, v24, v84 row_newbcast:4 row_mask:0xf bank_mask:0xf// 000000005FD0: 0AA8A8FA FF015418
	v_mul_f32_dpp v85, v24, v85 row_newbcast:5 row_mask:0xf bank_mask:0xf// 000000005FD8: 0AAAAAFA FF015518
	v_mul_f32_dpp v86, v24, v86 row_newbcast:6 row_mask:0xf bank_mask:0xf// 000000005FE0: 0AACACFA FF015618
	v_mul_f32_dpp v87, v24, v87 row_newbcast:7 row_mask:0xf bank_mask:0xf// 000000005FE8: 0AAEAEFA FF015718
	v_mul_f32_dpp v88, v24, v88 row_newbcast:4 row_mask:0xf bank_mask:0xf// 000000005FF0: 0AB0B0FA FF015418
	v_mul_f32_dpp v89, v24, v89 row_newbcast:5 row_mask:0xf bank_mask:0xf// 000000005FF8: 0AB2B2FA FF015518
	v_mul_f32_dpp v90, v24, v90 row_newbcast:6 row_mask:0xf bank_mask:0xf// 000000006000: 0AB4B4FA FF015618
	v_mul_f32_dpp v91, v24, v91 row_newbcast:7 row_mask:0xf bank_mask:0xf// 000000006008: 0AB6B6FA FF015718
	v_mul_f32_dpp v92, v24, v92 row_newbcast:4 row_mask:0xf bank_mask:0xf// 000000006010: 0AB8B8FA FF015418
	v_mul_f32_dpp v93, v24, v93 row_newbcast:5 row_mask:0xf bank_mask:0xf// 000000006018: 0ABABAFA FF015518
	v_mul_f32_dpp v94, v24, v94 row_newbcast:6 row_mask:0xf bank_mask:0xf// 000000006020: 0ABCBCFA FF015618
	v_mul_f32_dpp v95, v24, v95 row_newbcast:7 row_mask:0xf bank_mask:0xf// 000000006028: 0ABEBEFA FF015718
	v_mul_f32_dpp v96, v24, v96 row_newbcast:4 row_mask:0xf bank_mask:0xf// 000000006030: 0AC0C0FA FF015418
	v_mul_f32_dpp v97, v24, v97 row_newbcast:5 row_mask:0xf bank_mask:0xf// 000000006038: 0AC2C2FA FF015518
	v_mul_f32_dpp v98, v24, v98 row_newbcast:6 row_mask:0xf bank_mask:0xf// 000000006040: 0AC4C4FA FF015618
	v_mul_f32_dpp v99, v24, v99 row_newbcast:7 row_mask:0xf bank_mask:0xf// 000000006048: 0AC6C6FA FF015718
	v_mul_f32_dpp v100, v24, v100 row_newbcast:4 row_mask:0xf bank_mask:0xf// 000000006050: 0AC8C8FA FF015418
	v_mul_f32_dpp v101, v24, v101 row_newbcast:5 row_mask:0xf bank_mask:0xf// 000000006058: 0ACACAFA FF015518
	v_mul_f32_dpp v102, v24, v102 row_newbcast:6 row_mask:0xf bank_mask:0xf// 000000006060: 0ACCCCFA FF015618
	v_mul_f32_dpp v103, v24, v103 row_newbcast:7 row_mask:0xf bank_mask:0xf// 000000006068: 0ACECEFA FF015718
	v_mul_f32_dpp v104, v24, v104 row_newbcast:8 row_mask:0xf bank_mask:0xf// 000000006070: 0AD0D0FA FF015818
	v_mul_f32_dpp v105, v24, v105 row_newbcast:9 row_mask:0xf bank_mask:0xf// 000000006078: 0AD2D2FA FF015918
	v_mul_f32_dpp v106, v24, v106 row_newbcast:10 row_mask:0xf bank_mask:0xf// 000000006080: 0AD4D4FA FF015A18
	v_mul_f32_dpp v107, v24, v107 row_newbcast:11 row_mask:0xf bank_mask:0xf// 000000006088: 0AD6D6FA FF015B18
	v_mul_f32_dpp v108, v24, v108 row_newbcast:8 row_mask:0xf bank_mask:0xf// 000000006090: 0AD8D8FA FF015818
	v_mul_f32_dpp v109, v24, v109 row_newbcast:9 row_mask:0xf bank_mask:0xf// 000000006098: 0ADADAFA FF015918
	v_mul_f32_dpp v110, v24, v110 row_newbcast:10 row_mask:0xf bank_mask:0xf// 0000000060A0: 0ADCDCFA FF015A18
	v_mul_f32_dpp v111, v24, v111 row_newbcast:11 row_mask:0xf bank_mask:0xf// 0000000060A8: 0ADEDEFA FF015B18
	v_mul_f32_dpp v112, v24, v112 row_newbcast:8 row_mask:0xf bank_mask:0xf// 0000000060B0: 0AE0E0FA FF015818
	v_mul_f32_dpp v113, v24, v113 row_newbcast:9 row_mask:0xf bank_mask:0xf// 0000000060B8: 0AE2E2FA FF015918
	v_mul_f32_dpp v114, v24, v114 row_newbcast:10 row_mask:0xf bank_mask:0xf// 0000000060C0: 0AE4E4FA FF015A18
	v_mul_f32_dpp v115, v24, v115 row_newbcast:11 row_mask:0xf bank_mask:0xf// 0000000060C8: 0AE6E6FA FF015B18
	v_mul_f32_dpp v116, v24, v116 row_newbcast:8 row_mask:0xf bank_mask:0xf// 0000000060D0: 0AE8E8FA FF015818
	v_mul_f32_dpp v117, v24, v117 row_newbcast:9 row_mask:0xf bank_mask:0xf// 0000000060D8: 0AEAEAFA FF015918
	v_mul_f32_dpp v118, v24, v118 row_newbcast:10 row_mask:0xf bank_mask:0xf// 0000000060E0: 0AECECFA FF015A18
	v_mul_f32_dpp v119, v24, v119 row_newbcast:11 row_mask:0xf bank_mask:0xf// 0000000060E8: 0AEEEEFA FF015B18
	v_mul_f32_dpp v120, v24, v120 row_newbcast:8 row_mask:0xf bank_mask:0xf// 0000000060F0: 0AF0F0FA FF015818
	v_mul_f32_dpp v121, v24, v121 row_newbcast:9 row_mask:0xf bank_mask:0xf// 0000000060F8: 0AF2F2FA FF015918
	v_mul_f32_dpp v122, v24, v122 row_newbcast:10 row_mask:0xf bank_mask:0xf// 000000006100: 0AF4F4FA FF015A18
	v_mul_f32_dpp v123, v24, v123 row_newbcast:11 row_mask:0xf bank_mask:0xf// 000000006108: 0AF6F6FA FF015B18
	v_mul_f32_dpp v124, v24, v124 row_newbcast:12 row_mask:0xf bank_mask:0xf// 000000006110: 0AF8F8FA FF015C18
	v_mul_f32_dpp v125, v24, v125 row_newbcast:13 row_mask:0xf bank_mask:0xf// 000000006118: 0AFAFAFA FF015D18
	v_mul_f32_dpp v126, v24, v126 row_newbcast:14 row_mask:0xf bank_mask:0xf// 000000006120: 0AFCFCFA FF015E18
	v_mul_f32_dpp v127, v24, v127 row_newbcast:15 row_mask:0xf bank_mask:0xf// 000000006128: 0AFEFEFA FF015F18
	v_mul_f32_dpp v128, v24, v128 row_newbcast:12 row_mask:0xf bank_mask:0xf// 000000006130: 0B0100FA FF015C18
	v_mul_f32_dpp v129, v24, v129 row_newbcast:13 row_mask:0xf bank_mask:0xf// 000000006138: 0B0302FA FF015D18
	v_mul_f32_dpp v130, v24, v130 row_newbcast:14 row_mask:0xf bank_mask:0xf// 000000006140: 0B0504FA FF015E18
	v_mul_f32_dpp v131, v24, v131 row_newbcast:15 row_mask:0xf bank_mask:0xf// 000000006148: 0B0706FA FF015F18
	v_mul_f32_dpp v132, v24, v132 row_newbcast:12 row_mask:0xf bank_mask:0xf// 000000006150: 0B0908FA FF015C18
	v_mul_f32_dpp v133, v24, v133 row_newbcast:13 row_mask:0xf bank_mask:0xf// 000000006158: 0B0B0AFA FF015D18
	v_mul_f32_dpp v134, v24, v134 row_newbcast:14 row_mask:0xf bank_mask:0xf// 000000006160: 0B0D0CFA FF015E18
	v_mul_f32_dpp v135, v24, v135 row_newbcast:15 row_mask:0xf bank_mask:0xf// 000000006168: 0B0F0EFA FF015F18
	v_mul_f32_dpp v136, v24, v136 row_newbcast:12 row_mask:0xf bank_mask:0xf// 000000006170: 0B1110FA FF015C18
	v_mul_f32_dpp v137, v24, v137 row_newbcast:13 row_mask:0xf bank_mask:0xf// 000000006178: 0B1312FA FF015D18
	v_mul_f32_dpp v138, v24, v138 row_newbcast:14 row_mask:0xf bank_mask:0xf// 000000006180: 0B1514FA FF015E18
	v_mul_f32_dpp v139, v24, v139 row_newbcast:15 row_mask:0xf bank_mask:0xf// 000000006188: 0B1716FA FF015F18
	v_mul_f32_dpp v140, v24, v140 row_newbcast:12 row_mask:0xf bank_mask:0xf// 000000006190: 0B1918FA FF015C18
	v_mul_f32_dpp v141, v24, v141 row_newbcast:13 row_mask:0xf bank_mask:0xf// 000000006198: 0B1B1AFA FF015D18
	v_mul_f32_dpp v142, v24, v142 row_newbcast:14 row_mask:0xf bank_mask:0xf// 0000000061A0: 0B1D1CFA FF015E18
	v_mul_f32_dpp v143, v24, v143 row_newbcast:15 row_mask:0xf bank_mask:0xf// 0000000061A8: 0B1F1EFA FF015F18
	v_mul_f32_dpp v144, v27, v144 row_newbcast:0 row_mask:0xf bank_mask:0xf// 0000000061B0: 0B2120FA FF01501B
	v_mul_f32_dpp v145, v27, v145 row_newbcast:1 row_mask:0xf bank_mask:0xf// 0000000061B8: 0B2322FA FF01511B
	v_mul_f32_dpp v146, v27, v146 row_newbcast:2 row_mask:0xf bank_mask:0xf// 0000000061C0: 0B2524FA FF01521B
	v_mul_f32_dpp v147, v27, v147 row_newbcast:3 row_mask:0xf bank_mask:0xf// 0000000061C8: 0B2726FA FF01531B
	v_mul_f32_dpp v148, v27, v148 row_newbcast:0 row_mask:0xf bank_mask:0xf// 0000000061D0: 0B2928FA FF01501B
	v_mul_f32_dpp v149, v27, v149 row_newbcast:1 row_mask:0xf bank_mask:0xf// 0000000061D8: 0B2B2AFA FF01511B
	v_mul_f32_dpp v150, v27, v150 row_newbcast:2 row_mask:0xf bank_mask:0xf// 0000000061E0: 0B2D2CFA FF01521B
	v_mul_f32_dpp v151, v27, v151 row_newbcast:3 row_mask:0xf bank_mask:0xf// 0000000061E8: 0B2F2EFA FF01531B
	v_mul_f32_dpp v152, v27, v152 row_newbcast:0 row_mask:0xf bank_mask:0xf// 0000000061F0: 0B3130FA FF01501B
	v_mul_f32_dpp v153, v27, v153 row_newbcast:1 row_mask:0xf bank_mask:0xf// 0000000061F8: 0B3332FA FF01511B
	v_mul_f32_dpp v154, v27, v154 row_newbcast:2 row_mask:0xf bank_mask:0xf// 000000006200: 0B3534FA FF01521B
	v_mul_f32_dpp v155, v27, v155 row_newbcast:3 row_mask:0xf bank_mask:0xf// 000000006208: 0B3736FA FF01531B
	v_mul_f32_dpp v156, v27, v156 row_newbcast:0 row_mask:0xf bank_mask:0xf// 000000006210: 0B3938FA FF01501B
	v_mul_f32_dpp v157, v27, v157 row_newbcast:1 row_mask:0xf bank_mask:0xf// 000000006218: 0B3B3AFA FF01511B
	v_mul_f32_dpp v158, v27, v158 row_newbcast:2 row_mask:0xf bank_mask:0xf// 000000006220: 0B3D3CFA FF01521B
	v_mul_f32_dpp v159, v27, v159 row_newbcast:3 row_mask:0xf bank_mask:0xf// 000000006228: 0B3F3EFA FF01531B
	v_mul_f32_dpp v160, v27, v160 row_newbcast:0 row_mask:0xf bank_mask:0xf// 000000006230: 0B4140FA FF01501B
	v_mul_f32_dpp v161, v27, v161 row_newbcast:1 row_mask:0xf bank_mask:0xf// 000000006238: 0B4342FA FF01511B
	v_mul_f32_dpp v162, v27, v162 row_newbcast:2 row_mask:0xf bank_mask:0xf// 000000006240: 0B4544FA FF01521B
	v_mul_f32_dpp v163, v27, v163 row_newbcast:3 row_mask:0xf bank_mask:0xf// 000000006248: 0B4746FA FF01531B
	v_mul_f32_dpp v164, v27, v164 row_newbcast:4 row_mask:0xf bank_mask:0xf// 000000006250: 0B4948FA FF01541B
	v_mul_f32_dpp v165, v27, v165 row_newbcast:5 row_mask:0xf bank_mask:0xf// 000000006258: 0B4B4AFA FF01551B
	v_mul_f32_dpp v166, v27, v166 row_newbcast:6 row_mask:0xf bank_mask:0xf// 000000006260: 0B4D4CFA FF01561B
	v_mul_f32_dpp v167, v27, v167 row_newbcast:7 row_mask:0xf bank_mask:0xf// 000000006268: 0B4F4EFA FF01571B
	v_mul_f32_dpp v168, v27, v168 row_newbcast:4 row_mask:0xf bank_mask:0xf// 000000006270: 0B5150FA FF01541B
	v_mul_f32_dpp v169, v27, v169 row_newbcast:5 row_mask:0xf bank_mask:0xf// 000000006278: 0B5352FA FF01551B
	v_mul_f32_dpp v170, v27, v170 row_newbcast:6 row_mask:0xf bank_mask:0xf// 000000006280: 0B5554FA FF01561B
	v_mul_f32_dpp v171, v27, v171 row_newbcast:7 row_mask:0xf bank_mask:0xf// 000000006288: 0B5756FA FF01571B
	v_mul_f32_dpp v172, v27, v172 row_newbcast:4 row_mask:0xf bank_mask:0xf// 000000006290: 0B5958FA FF01541B
	v_mul_f32_dpp v173, v27, v173 row_newbcast:5 row_mask:0xf bank_mask:0xf// 000000006298: 0B5B5AFA FF01551B
	v_mul_f32_dpp v174, v27, v174 row_newbcast:6 row_mask:0xf bank_mask:0xf// 0000000062A0: 0B5D5CFA FF01561B
	v_mul_f32_dpp v175, v27, v175 row_newbcast:7 row_mask:0xf bank_mask:0xf// 0000000062A8: 0B5F5EFA FF01571B
	v_mul_f32_dpp v176, v27, v176 row_newbcast:4 row_mask:0xf bank_mask:0xf// 0000000062B0: 0B6160FA FF01541B
	v_mul_f32_dpp v177, v27, v177 row_newbcast:5 row_mask:0xf bank_mask:0xf// 0000000062B8: 0B6362FA FF01551B
	v_mul_f32_dpp v178, v27, v178 row_newbcast:6 row_mask:0xf bank_mask:0xf// 0000000062C0: 0B6564FA FF01561B
	v_mul_f32_dpp v179, v27, v179 row_newbcast:7 row_mask:0xf bank_mask:0xf// 0000000062C8: 0B6766FA FF01571B
	v_mul_f32_dpp v180, v27, v180 row_newbcast:4 row_mask:0xf bank_mask:0xf// 0000000062D0: 0B6968FA FF01541B
	v_mul_f32_dpp v181, v27, v181 row_newbcast:5 row_mask:0xf bank_mask:0xf// 0000000062D8: 0B6B6AFA FF01551B
	v_mul_f32_dpp v182, v27, v182 row_newbcast:6 row_mask:0xf bank_mask:0xf// 0000000062E0: 0B6D6CFA FF01561B
	v_mul_f32_dpp v183, v27, v183 row_newbcast:7 row_mask:0xf bank_mask:0xf// 0000000062E8: 0B6F6EFA FF01571B
	v_mul_f32_dpp v184, v27, v184 row_newbcast:8 row_mask:0xf bank_mask:0xf// 0000000062F0: 0B7170FA FF01581B
	v_mul_f32_dpp v185, v27, v185 row_newbcast:9 row_mask:0xf bank_mask:0xf// 0000000062F8: 0B7372FA FF01591B
	v_mul_f32_dpp v186, v27, v186 row_newbcast:10 row_mask:0xf bank_mask:0xf// 000000006300: 0B7574FA FF015A1B
	v_mul_f32_dpp v187, v27, v187 row_newbcast:11 row_mask:0xf bank_mask:0xf// 000000006308: 0B7776FA FF015B1B
	v_mul_f32_dpp v188, v27, v188 row_newbcast:8 row_mask:0xf bank_mask:0xf// 000000006310: 0B7978FA FF01581B
	v_mul_f32_dpp v189, v27, v189 row_newbcast:9 row_mask:0xf bank_mask:0xf// 000000006318: 0B7B7AFA FF01591B
	v_mul_f32_dpp v190, v27, v190 row_newbcast:10 row_mask:0xf bank_mask:0xf// 000000006320: 0B7D7CFA FF015A1B
	v_mul_f32_dpp v191, v27, v191 row_newbcast:11 row_mask:0xf bank_mask:0xf// 000000006328: 0B7F7EFA FF015B1B
	v_mul_f32_dpp v192, v27, v192 row_newbcast:8 row_mask:0xf bank_mask:0xf// 000000006330: 0B8180FA FF01581B
	v_mul_f32_dpp v193, v27, v193 row_newbcast:9 row_mask:0xf bank_mask:0xf// 000000006338: 0B8382FA FF01591B
	v_mul_f32_dpp v194, v27, v194 row_newbcast:10 row_mask:0xf bank_mask:0xf// 000000006340: 0B8584FA FF015A1B
	v_mul_f32_dpp v195, v27, v195 row_newbcast:11 row_mask:0xf bank_mask:0xf// 000000006348: 0B8786FA FF015B1B
	v_mul_f32_dpp v196, v27, v196 row_newbcast:8 row_mask:0xf bank_mask:0xf// 000000006350: 0B8988FA FF01581B
	v_mul_f32_dpp v197, v27, v197 row_newbcast:9 row_mask:0xf bank_mask:0xf// 000000006358: 0B8B8AFA FF01591B
	v_mul_f32_dpp v198, v27, v198 row_newbcast:10 row_mask:0xf bank_mask:0xf// 000000006360: 0B8D8CFA FF015A1B
	v_mul_f32_dpp v199, v27, v199 row_newbcast:11 row_mask:0xf bank_mask:0xf// 000000006368: 0B8F8EFA FF015B1B
	v_mul_f32_dpp v200, v27, v200 row_newbcast:8 row_mask:0xf bank_mask:0xf// 000000006370: 0B9190FA FF01581B
	v_mul_f32_dpp v201, v27, v201 row_newbcast:9 row_mask:0xf bank_mask:0xf// 000000006378: 0B9392FA FF01591B
	v_mul_f32_dpp v202, v27, v202 row_newbcast:10 row_mask:0xf bank_mask:0xf// 000000006380: 0B9594FA FF015A1B
	v_mul_f32_dpp v203, v27, v203 row_newbcast:11 row_mask:0xf bank_mask:0xf// 000000006388: 0B9796FA FF015B1B
	v_mul_f32_dpp v204, v27, v204 row_newbcast:12 row_mask:0xf bank_mask:0xf// 000000006390: 0B9998FA FF015C1B
	v_mul_f32_dpp v205, v27, v205 row_newbcast:13 row_mask:0xf bank_mask:0xf// 000000006398: 0B9B9AFA FF015D1B
	v_mul_f32_dpp v206, v27, v206 row_newbcast:14 row_mask:0xf bank_mask:0xf// 0000000063A0: 0B9D9CFA FF015E1B
	v_mul_f32_dpp v207, v27, v207 row_newbcast:15 row_mask:0xf bank_mask:0xf// 0000000063A8: 0B9F9EFA FF015F1B
	v_mul_f32_dpp v208, v27, v208 row_newbcast:12 row_mask:0xf bank_mask:0xf// 0000000063B0: 0BA1A0FA FF015C1B
	v_mul_f32_dpp v209, v27, v209 row_newbcast:13 row_mask:0xf bank_mask:0xf// 0000000063B8: 0BA3A2FA FF015D1B
	v_mul_f32_dpp v210, v27, v210 row_newbcast:14 row_mask:0xf bank_mask:0xf// 0000000063C0: 0BA5A4FA FF015E1B
	v_mul_f32_dpp v211, v27, v211 row_newbcast:15 row_mask:0xf bank_mask:0xf// 0000000063C8: 0BA7A6FA FF015F1B
	v_mul_f32_dpp v212, v27, v212 row_newbcast:12 row_mask:0xf bank_mask:0xf// 0000000063D0: 0BA9A8FA FF015C1B
	v_mul_f32_dpp v213, v27, v213 row_newbcast:13 row_mask:0xf bank_mask:0xf// 0000000063D8: 0BABAAFA FF015D1B
	v_mul_f32_dpp v214, v27, v214 row_newbcast:14 row_mask:0xf bank_mask:0xf// 0000000063E0: 0BADACFA FF015E1B
	v_mul_f32_dpp v215, v27, v215 row_newbcast:15 row_mask:0xf bank_mask:0xf// 0000000063E8: 0BAFAEFA FF015F1B
	v_mul_f32_dpp v216, v27, v216 row_newbcast:12 row_mask:0xf bank_mask:0xf// 0000000063F0: 0BB1B0FA FF015C1B
	v_mul_f32_dpp v217, v27, v217 row_newbcast:13 row_mask:0xf bank_mask:0xf// 0000000063F8: 0BB3B2FA FF015D1B
	v_mul_f32_dpp v218, v27, v218 row_newbcast:14 row_mask:0xf bank_mask:0xf// 000000006400: 0BB5B4FA FF015E1B
	v_mul_f32_dpp v219, v27, v219 row_newbcast:15 row_mask:0xf bank_mask:0xf// 000000006408: 0BB7B6FA FF015F1B
	v_mul_f32_dpp v220, v27, v220 row_newbcast:12 row_mask:0xf bank_mask:0xf// 000000006410: 0BB9B8FA FF015C1B
	v_mul_f32_dpp v221, v27, v221 row_newbcast:13 row_mask:0xf bank_mask:0xf// 000000006418: 0BBBBAFA FF015D1B
	v_mul_f32_dpp v222, v27, v222 row_newbcast:14 row_mask:0xf bank_mask:0xf// 000000006420: 0BBDBCFA FF015E1B
	v_mul_f32_dpp v223, v27, v223 row_newbcast:15 row_mask:0xf bank_mask:0xf// 000000006428: 0BBFBEFA FF015F1B
	v_mov_b32_e32 v4, v35                                      // 000000006430: 7E080323
	v_mov_b32_e32 v5, v4                                       // 000000006434: 7E0A0304
	v_pk_mul_f32 v[64:65], v[4:5], v[64:65]                    // 000000006438: D3B14040 18028104
	v_pk_mul_f32 v[144:145], v[4:5], v[144:145]                // 000000006440: D3B14090 18032104
	v_pk_mul_f32 v[66:67], v[4:5], v[66:67]                    // 000000006448: D3B14042 18028504
	v_pk_mul_f32 v[146:147], v[4:5], v[146:147]                // 000000006450: D3B14092 18032504
	v_pk_mul_f32 v[84:85], v[4:5], v[84:85]                    // 000000006458: D3B14054 1802A904
	v_pk_mul_f32 v[164:165], v[4:5], v[164:165]                // 000000006460: D3B140A4 18034904
	v_pk_mul_f32 v[86:87], v[4:5], v[86:87]                    // 000000006468: D3B14056 1802AD04
	v_pk_mul_f32 v[166:167], v[4:5], v[166:167]                // 000000006470: D3B140A6 18034D04
	v_pk_mul_f32 v[104:105], v[4:5], v[104:105]                // 000000006478: D3B14068 1802D104
	v_pk_mul_f32 v[184:185], v[4:5], v[184:185]                // 000000006480: D3B140B8 18037104
	v_pk_mul_f32 v[106:107], v[4:5], v[106:107]                // 000000006488: D3B1406A 1802D504
	v_pk_mul_f32 v[186:187], v[4:5], v[186:187]                // 000000006490: D3B140BA 18037504
	v_pk_mul_f32 v[124:125], v[4:5], v[124:125]                // 000000006498: D3B1407C 1802F904
	v_pk_mul_f32 v[204:205], v[4:5], v[204:205]                // 0000000064A0: D3B140CC 18039904
	v_pk_mul_f32 v[126:127], v[4:5], v[126:127]                // 0000000064A8: D3B1407E 1802FD04
	v_pk_mul_f32 v[206:207], v[4:5], v[206:207]                // 0000000064B0: D3B140CE 18039D04
	v_mov_b32_e32 v4, v36                                      // 0000000064B8: 7E080324
	v_mov_b32_e32 v5, v4                                       // 0000000064BC: 7E0A0304
	v_pk_mul_f32 v[68:69], v[4:5], v[68:69]                    // 0000000064C0: D3B14044 18028904
	v_pk_mul_f32 v[148:149], v[4:5], v[148:149]                // 0000000064C8: D3B14094 18032904
	v_pk_mul_f32 v[70:71], v[4:5], v[70:71]                    // 0000000064D0: D3B14046 18028D04
	v_pk_mul_f32 v[150:151], v[4:5], v[150:151]                // 0000000064D8: D3B14096 18032D04
	v_pk_mul_f32 v[88:89], v[4:5], v[88:89]                    // 0000000064E0: D3B14058 1802B104
	v_pk_mul_f32 v[168:169], v[4:5], v[168:169]                // 0000000064E8: D3B140A8 18035104
	v_pk_mul_f32 v[90:91], v[4:5], v[90:91]                    // 0000000064F0: D3B1405A 1802B504
	v_pk_mul_f32 v[170:171], v[4:5], v[170:171]                // 0000000064F8: D3B140AA 18035504
	v_pk_mul_f32 v[108:109], v[4:5], v[108:109]                // 000000006500: D3B1406C 1802D904
	v_pk_mul_f32 v[188:189], v[4:5], v[188:189]                // 000000006508: D3B140BC 18037904
	v_pk_mul_f32 v[110:111], v[4:5], v[110:111]                // 000000006510: D3B1406E 1802DD04
	v_pk_mul_f32 v[190:191], v[4:5], v[190:191]                // 000000006518: D3B140BE 18037D04
	v_pk_mul_f32 v[128:129], v[4:5], v[128:129]                // 000000006520: D3B14080 18030104
	v_pk_mul_f32 v[208:209], v[4:5], v[208:209]                // 000000006528: D3B140D0 1803A104
	v_pk_mul_f32 v[130:131], v[4:5], v[130:131]                // 000000006530: D3B14082 18030504
	v_pk_mul_f32 v[210:211], v[4:5], v[210:211]                // 000000006538: D3B140D2 1803A504
	v_mov_b32_e32 v4, v37                                      // 000000006540: 7E080325
	v_mov_b32_e32 v5, v4                                       // 000000006544: 7E0A0304
	v_pk_mul_f32 v[72:73], v[4:5], v[72:73]                    // 000000006548: D3B14048 18029104
	v_pk_mul_f32 v[152:153], v[4:5], v[152:153]                // 000000006550: D3B14098 18033104
	v_pk_mul_f32 v[74:75], v[4:5], v[74:75]                    // 000000006558: D3B1404A 18029504
	v_pk_mul_f32 v[154:155], v[4:5], v[154:155]                // 000000006560: D3B1409A 18033504
	v_pk_mul_f32 v[92:93], v[4:5], v[92:93]                    // 000000006568: D3B1405C 1802B904
	v_pk_mul_f32 v[172:173], v[4:5], v[172:173]                // 000000006570: D3B140AC 18035904
	v_pk_mul_f32 v[94:95], v[4:5], v[94:95]                    // 000000006578: D3B1405E 1802BD04
	v_pk_mul_f32 v[174:175], v[4:5], v[174:175]                // 000000006580: D3B140AE 18035D04
	v_pk_mul_f32 v[112:113], v[4:5], v[112:113]                // 000000006588: D3B14070 1802E104
	v_pk_mul_f32 v[192:193], v[4:5], v[192:193]                // 000000006590: D3B140C0 18038104
	v_pk_mul_f32 v[114:115], v[4:5], v[114:115]                // 000000006598: D3B14072 1802E504
	v_pk_mul_f32 v[194:195], v[4:5], v[194:195]                // 0000000065A0: D3B140C2 18038504
	v_pk_mul_f32 v[132:133], v[4:5], v[132:133]                // 0000000065A8: D3B14084 18030904
	v_pk_mul_f32 v[212:213], v[4:5], v[212:213]                // 0000000065B0: D3B140D4 1803A904
	v_pk_mul_f32 v[134:135], v[4:5], v[134:135]                // 0000000065B8: D3B14086 18030D04
	v_pk_mul_f32 v[214:215], v[4:5], v[214:215]                // 0000000065C0: D3B140D6 1803AD04
	v_mov_b32_e32 v4, v38                                      // 0000000065C8: 7E080326
	v_mov_b32_e32 v5, v4                                       // 0000000065CC: 7E0A0304
	v_pk_mul_f32 v[76:77], v[4:5], v[76:77]                    // 0000000065D0: D3B1404C 18029904
	v_pk_mul_f32 v[156:157], v[4:5], v[156:157]                // 0000000065D8: D3B1409C 18033904
	v_pk_mul_f32 v[78:79], v[4:5], v[78:79]                    // 0000000065E0: D3B1404E 18029D04
	v_pk_mul_f32 v[158:159], v[4:5], v[158:159]                // 0000000065E8: D3B1409E 18033D04
	v_pk_mul_f32 v[96:97], v[4:5], v[96:97]                    // 0000000065F0: D3B14060 1802C104
	v_pk_mul_f32 v[176:177], v[4:5], v[176:177]                // 0000000065F8: D3B140B0 18036104
	v_pk_mul_f32 v[98:99], v[4:5], v[98:99]                    // 000000006600: D3B14062 1802C504
	v_pk_mul_f32 v[178:179], v[4:5], v[178:179]                // 000000006608: D3B140B2 18036504
	v_pk_mul_f32 v[116:117], v[4:5], v[116:117]                // 000000006610: D3B14074 1802E904
	v_pk_mul_f32 v[196:197], v[4:5], v[196:197]                // 000000006618: D3B140C4 18038904
	v_pk_mul_f32 v[118:119], v[4:5], v[118:119]                // 000000006620: D3B14076 1802ED04
	v_pk_mul_f32 v[198:199], v[4:5], v[198:199]                // 000000006628: D3B140C6 18038D04
	v_pk_mul_f32 v[136:137], v[4:5], v[136:137]                // 000000006630: D3B14088 18031104
	v_pk_mul_f32 v[216:217], v[4:5], v[216:217]                // 000000006638: D3B140D8 1803B104
	v_pk_mul_f32 v[138:139], v[4:5], v[138:139]                // 000000006640: D3B1408A 18031504
	v_pk_mul_f32 v[218:219], v[4:5], v[218:219]                // 000000006648: D3B140DA 1803B504
	v_mov_b32_e32 v4, v39                                      // 000000006650: 7E080327
	v_mov_b32_e32 v5, v4                                       // 000000006654: 7E0A0304
	v_pk_mul_f32 v[80:81], v[4:5], v[80:81]                    // 000000006658: D3B14050 1802A104
	v_pk_mul_f32 v[160:161], v[4:5], v[160:161]                // 000000006660: D3B140A0 18034104
	v_pk_mul_f32 v[82:83], v[4:5], v[82:83]                    // 000000006668: D3B14052 1802A504
	v_pk_mul_f32 v[162:163], v[4:5], v[162:163]                // 000000006670: D3B140A2 18034504
	v_pk_mul_f32 v[100:101], v[4:5], v[100:101]                // 000000006678: D3B14064 1802C904
	v_pk_mul_f32 v[180:181], v[4:5], v[180:181]                // 000000006680: D3B140B4 18036904
	v_pk_mul_f32 v[102:103], v[4:5], v[102:103]                // 000000006688: D3B14066 1802CD04
	v_pk_mul_f32 v[182:183], v[4:5], v[182:183]                // 000000006690: D3B140B6 18036D04
	v_pk_mul_f32 v[120:121], v[4:5], v[120:121]                // 000000006698: D3B14078 1802F104
	v_pk_mul_f32 v[200:201], v[4:5], v[200:201]                // 0000000066A0: D3B140C8 18039104
	v_pk_mul_f32 v[122:123], v[4:5], v[122:123]                // 0000000066A8: D3B1407A 1802F504
	v_pk_mul_f32 v[202:203], v[4:5], v[202:203]                // 0000000066B0: D3B140CA 18039504
	v_pk_mul_f32 v[140:141], v[4:5], v[140:141]                // 0000000066B8: D3B1408C 18031904
	v_pk_mul_f32 v[220:221], v[4:5], v[220:221]                // 0000000066C0: D3B140DC 1803B904
	v_pk_mul_f32 v[142:143], v[4:5], v[142:143]                // 0000000066C8: D3B1408E 18031D04
	v_pk_mul_f32 v[222:223], v[4:5], v[222:223]                // 0000000066D0: D3B140DE 1803BD04
	s_cmp_eq_u32 s88, 0                                        // 0000000066D8: BF068058
	s_cbranch_scc0 label_196D                                  // 0000000066DC: BF840A35
	s_cmp_eq_u32 s89, 0                                        // 0000000066E0: BF068059
	s_cbranch_scc1 label_125F                                  // 0000000066E4: BF850325
	v_mov_b32_e32 v8, v1                                       // 0000000066E8: 7E100301
	v_mov_b32_e32 v9, v1                                       // 0000000066EC: 7E120301
	s_mov_b32 s60, s6                                          // 0000000066F0: BEBC0006
	s_mov_b32 s61, s6                                          // 0000000066F4: BEBD0006
	v_pk_mul_f32 v[4:5], v[64:65], v[64:65]                    // 0000000066F8: D3B14004 18028140
	v_pk_mul_f32 v[6:7], v[66:67], v[66:67]                    // 000000006700: D3B14006 18028542
	v_pk_fma_f32 v[4:5], v[4:5], s[78:79], v[8:9]              // 000000006708: D3B04004 1C209D04
	v_pk_fma_f32 v[6:7], v[6:7], s[78:79], v[8:9]              // 000000006710: D3B04006 1C209D06
	v_pk_mul_f32 v[4:5], v[4:5], v[64:65]                      // 000000006718: D3B14004 18028104
	v_pk_mul_f32 v[6:7], v[6:7], v[66:67]                      // 000000006720: D3B14006 18028506
	v_pk_mul_f32 v[4:5], v[4:5], s[60:61]                      // 000000006728: D3B14004 18007904
	v_pk_mul_f32 v[6:7], v[6:7], s[60:61]                      // 000000006730: D3B14006 18007906
	v_exp_f32_e32 v4, v4                                       // 000000006738: 7E084104
	v_exp_f32_e32 v5, v5                                       // 00000000673C: 7E0A4105
	v_exp_f32_e32 v6, v6                                       // 000000006740: 7E0C4106
	v_exp_f32_e32 v7, v7                                       // 000000006744: 7E0E4107
	v_add_f32_e64 v4, v4, 1.0                                  // 000000006748: D1010004 0001E504
	v_add_f32_e64 v5, v5, 1.0                                  // 000000006750: D1010005 0001E505
	v_add_f32_e64 v6, v6, 1.0                                  // 000000006758: D1010006 0001E506
	v_add_f32_e64 v7, v7, 1.0                                  // 000000006760: D1010007 0001E507
	v_rcp_f32_e32 v4, v4                                       // 000000006768: 7E084504
	v_rcp_f32_e32 v5, v5                                       // 00000000676C: 7E0A4505
	v_rcp_f32_e32 v6, v6                                       // 000000006770: 7E0C4506
	v_rcp_f32_e32 v7, v7                                       // 000000006774: 7E0E4507
	v_mul_f32_e32 v64, v64, v4                                 // 000000006778: 0A800940
	v_mul_f32_e32 v65, v65, v5                                 // 00000000677C: 0A820B41
	v_mul_f32_e32 v66, v66, v6                                 // 000000006780: 0A840D42
	v_mul_f32_e32 v67, v67, v7                                 // 000000006784: 0A860F43
	v_mul_f32_e32 v64, v64, v144                               // 000000006788: 0A812140
	v_mul_f32_e32 v65, v65, v145                               // 00000000678C: 0A832341
	v_mul_f32_e32 v66, v66, v146                               // 000000006790: 0A852542
	v_mul_f32_e32 v67, v67, v147                               // 000000006794: 0A872743
	v_pk_mul_f32 v[4:5], v[68:69], v[68:69]                    // 000000006798: D3B14004 18028944
	v_pk_mul_f32 v[6:7], v[70:71], v[70:71]                    // 0000000067A0: D3B14006 18028D46
	v_pk_fma_f32 v[4:5], v[4:5], s[78:79], v[8:9]              // 0000000067A8: D3B04004 1C209D04
	v_pk_fma_f32 v[6:7], v[6:7], s[78:79], v[8:9]              // 0000000067B0: D3B04006 1C209D06
	v_pk_mul_f32 v[4:5], v[4:5], v[68:69]                      // 0000000067B8: D3B14004 18028904
	v_pk_mul_f32 v[6:7], v[6:7], v[70:71]                      // 0000000067C0: D3B14006 18028D06
	v_pk_mul_f32 v[4:5], v[4:5], s[60:61]                      // 0000000067C8: D3B14004 18007904
	v_pk_mul_f32 v[6:7], v[6:7], s[60:61]                      // 0000000067D0: D3B14006 18007906
	v_exp_f32_e32 v4, v4                                       // 0000000067D8: 7E084104
	v_exp_f32_e32 v5, v5                                       // 0000000067DC: 7E0A4105
	v_exp_f32_e32 v6, v6                                       // 0000000067E0: 7E0C4106
	v_exp_f32_e32 v7, v7                                       // 0000000067E4: 7E0E4107
	v_add_f32_e64 v4, v4, 1.0                                  // 0000000067E8: D1010004 0001E504
	v_add_f32_e64 v5, v5, 1.0                                  // 0000000067F0: D1010005 0001E505
	v_add_f32_e64 v6, v6, 1.0                                  // 0000000067F8: D1010006 0001E506
	v_add_f32_e64 v7, v7, 1.0                                  // 000000006800: D1010007 0001E507
	v_rcp_f32_e32 v4, v4                                       // 000000006808: 7E084504
	v_rcp_f32_e32 v5, v5                                       // 00000000680C: 7E0A4505
	v_rcp_f32_e32 v6, v6                                       // 000000006810: 7E0C4506
	v_rcp_f32_e32 v7, v7                                       // 000000006814: 7E0E4507
	v_mul_f32_e32 v68, v68, v4                                 // 000000006818: 0A880944
	v_mul_f32_e32 v69, v69, v5                                 // 00000000681C: 0A8A0B45
	v_mul_f32_e32 v70, v70, v6                                 // 000000006820: 0A8C0D46
	v_mul_f32_e32 v71, v71, v7                                 // 000000006824: 0A8E0F47
	v_mul_f32_e32 v68, v68, v148                               // 000000006828: 0A892944
	v_mul_f32_e32 v69, v69, v149                               // 00000000682C: 0A8B2B45
	v_mul_f32_e32 v70, v70, v150                               // 000000006830: 0A8D2D46
	v_mul_f32_e32 v71, v71, v151                               // 000000006834: 0A8F2F47
	v_pk_mul_f32 v[4:5], v[72:73], v[72:73]                    // 000000006838: D3B14004 18029148
	v_pk_mul_f32 v[6:7], v[74:75], v[74:75]                    // 000000006840: D3B14006 1802954A
	v_pk_fma_f32 v[4:5], v[4:5], s[78:79], v[8:9]              // 000000006848: D3B04004 1C209D04
	v_pk_fma_f32 v[6:7], v[6:7], s[78:79], v[8:9]              // 000000006850: D3B04006 1C209D06
	v_pk_mul_f32 v[4:5], v[4:5], v[72:73]                      // 000000006858: D3B14004 18029104
	v_pk_mul_f32 v[6:7], v[6:7], v[74:75]                      // 000000006860: D3B14006 18029506
	v_pk_mul_f32 v[4:5], v[4:5], s[60:61]                      // 000000006868: D3B14004 18007904
	v_pk_mul_f32 v[6:7], v[6:7], s[60:61]                      // 000000006870: D3B14006 18007906
	v_exp_f32_e32 v4, v4                                       // 000000006878: 7E084104
	v_exp_f32_e32 v5, v5                                       // 00000000687C: 7E0A4105
	v_exp_f32_e32 v6, v6                                       // 000000006880: 7E0C4106
	v_exp_f32_e32 v7, v7                                       // 000000006884: 7E0E4107
	v_add_f32_e64 v4, v4, 1.0                                  // 000000006888: D1010004 0001E504
	v_add_f32_e64 v5, v5, 1.0                                  // 000000006890: D1010005 0001E505
	v_add_f32_e64 v6, v6, 1.0                                  // 000000006898: D1010006 0001E506
	v_add_f32_e64 v7, v7, 1.0                                  // 0000000068A0: D1010007 0001E507
	v_rcp_f32_e32 v4, v4                                       // 0000000068A8: 7E084504
	v_rcp_f32_e32 v5, v5                                       // 0000000068AC: 7E0A4505
	v_rcp_f32_e32 v6, v6                                       // 0000000068B0: 7E0C4506
	v_rcp_f32_e32 v7, v7                                       // 0000000068B4: 7E0E4507
	v_mul_f32_e32 v72, v72, v4                                 // 0000000068B8: 0A900948
	v_mul_f32_e32 v73, v73, v5                                 // 0000000068BC: 0A920B49
	v_mul_f32_e32 v74, v74, v6                                 // 0000000068C0: 0A940D4A
	v_mul_f32_e32 v75, v75, v7                                 // 0000000068C4: 0A960F4B
	v_mul_f32_e32 v72, v72, v152                               // 0000000068C8: 0A913148
	v_mul_f32_e32 v73, v73, v153                               // 0000000068CC: 0A933349
	v_mul_f32_e32 v74, v74, v154                               // 0000000068D0: 0A95354A
	v_mul_f32_e32 v75, v75, v155                               // 0000000068D4: 0A97374B
	v_pk_mul_f32 v[4:5], v[76:77], v[76:77]                    // 0000000068D8: D3B14004 1802994C
	v_pk_mul_f32 v[6:7], v[78:79], v[78:79]                    // 0000000068E0: D3B14006 18029D4E
	v_pk_fma_f32 v[4:5], v[4:5], s[78:79], v[8:9]              // 0000000068E8: D3B04004 1C209D04
	v_pk_fma_f32 v[6:7], v[6:7], s[78:79], v[8:9]              // 0000000068F0: D3B04006 1C209D06
	v_pk_mul_f32 v[4:5], v[4:5], v[76:77]                      // 0000000068F8: D3B14004 18029904
	v_pk_mul_f32 v[6:7], v[6:7], v[78:79]                      // 000000006900: D3B14006 18029D06
	v_pk_mul_f32 v[4:5], v[4:5], s[60:61]                      // 000000006908: D3B14004 18007904
	v_pk_mul_f32 v[6:7], v[6:7], s[60:61]                      // 000000006910: D3B14006 18007906
	v_exp_f32_e32 v4, v4                                       // 000000006918: 7E084104
	v_exp_f32_e32 v5, v5                                       // 00000000691C: 7E0A4105
	v_exp_f32_e32 v6, v6                                       // 000000006920: 7E0C4106
	v_exp_f32_e32 v7, v7                                       // 000000006924: 7E0E4107
	v_add_f32_e64 v4, v4, 1.0                                  // 000000006928: D1010004 0001E504
	v_add_f32_e64 v5, v5, 1.0                                  // 000000006930: D1010005 0001E505
	v_add_f32_e64 v6, v6, 1.0                                  // 000000006938: D1010006 0001E506
	v_add_f32_e64 v7, v7, 1.0                                  // 000000006940: D1010007 0001E507
	v_rcp_f32_e32 v4, v4                                       // 000000006948: 7E084504
	v_rcp_f32_e32 v5, v5                                       // 00000000694C: 7E0A4505
	v_rcp_f32_e32 v6, v6                                       // 000000006950: 7E0C4506
	v_rcp_f32_e32 v7, v7                                       // 000000006954: 7E0E4507
	v_mul_f32_e32 v76, v76, v4                                 // 000000006958: 0A98094C
	v_mul_f32_e32 v77, v77, v5                                 // 00000000695C: 0A9A0B4D
	v_mul_f32_e32 v78, v78, v6                                 // 000000006960: 0A9C0D4E
	v_mul_f32_e32 v79, v79, v7                                 // 000000006964: 0A9E0F4F
	v_mul_f32_e32 v76, v76, v156                               // 000000006968: 0A99394C
	v_mul_f32_e32 v77, v77, v157                               // 00000000696C: 0A9B3B4D
	v_mul_f32_e32 v78, v78, v158                               // 000000006970: 0A9D3D4E
	v_mul_f32_e32 v79, v79, v159                               // 000000006974: 0A9F3F4F
	v_pk_mul_f32 v[4:5], v[80:81], v[80:81]                    // 000000006978: D3B14004 1802A150
	v_pk_mul_f32 v[6:7], v[82:83], v[82:83]                    // 000000006980: D3B14006 1802A552
	v_pk_fma_f32 v[4:5], v[4:5], s[78:79], v[8:9]              // 000000006988: D3B04004 1C209D04
	v_pk_fma_f32 v[6:7], v[6:7], s[78:79], v[8:9]              // 000000006990: D3B04006 1C209D06
	v_pk_mul_f32 v[4:5], v[4:5], v[80:81]                      // 000000006998: D3B14004 1802A104
	v_pk_mul_f32 v[6:7], v[6:7], v[82:83]                      // 0000000069A0: D3B14006 1802A506
	v_pk_mul_f32 v[4:5], v[4:5], s[60:61]                      // 0000000069A8: D3B14004 18007904
	v_pk_mul_f32 v[6:7], v[6:7], s[60:61]                      // 0000000069B0: D3B14006 18007906
	v_exp_f32_e32 v4, v4                                       // 0000000069B8: 7E084104
	v_exp_f32_e32 v5, v5                                       // 0000000069BC: 7E0A4105
	v_exp_f32_e32 v6, v6                                       // 0000000069C0: 7E0C4106
	v_exp_f32_e32 v7, v7                                       // 0000000069C4: 7E0E4107
	v_add_f32_e64 v4, v4, 1.0                                  // 0000000069C8: D1010004 0001E504
	v_add_f32_e64 v5, v5, 1.0                                  // 0000000069D0: D1010005 0001E505
	v_add_f32_e64 v6, v6, 1.0                                  // 0000000069D8: D1010006 0001E506
	v_add_f32_e64 v7, v7, 1.0                                  // 0000000069E0: D1010007 0001E507
	v_rcp_f32_e32 v4, v4                                       // 0000000069E8: 7E084504
	v_rcp_f32_e32 v5, v5                                       // 0000000069EC: 7E0A4505
	v_rcp_f32_e32 v6, v6                                       // 0000000069F0: 7E0C4506
	v_rcp_f32_e32 v7, v7                                       // 0000000069F4: 7E0E4507
	v_mul_f32_e32 v80, v80, v4                                 // 0000000069F8: 0AA00950
	v_mul_f32_e32 v81, v81, v5                                 // 0000000069FC: 0AA20B51
	v_mul_f32_e32 v82, v82, v6                                 // 000000006A00: 0AA40D52
	v_mul_f32_e32 v83, v83, v7                                 // 000000006A04: 0AA60F53
	v_mul_f32_e32 v80, v80, v160                               // 000000006A08: 0AA14150
	v_mul_f32_e32 v81, v81, v161                               // 000000006A0C: 0AA34351
	v_mul_f32_e32 v82, v82, v162                               // 000000006A10: 0AA54552
	v_mul_f32_e32 v83, v83, v163                               // 000000006A14: 0AA74753
	v_pk_mul_f32 v[4:5], v[84:85], v[84:85]                    // 000000006A18: D3B14004 1802A954
	v_pk_mul_f32 v[6:7], v[86:87], v[86:87]                    // 000000006A20: D3B14006 1802AD56
	v_pk_fma_f32 v[4:5], v[4:5], s[78:79], v[8:9]              // 000000006A28: D3B04004 1C209D04
	v_pk_fma_f32 v[6:7], v[6:7], s[78:79], v[8:9]              // 000000006A30: D3B04006 1C209D06
	v_pk_mul_f32 v[4:5], v[4:5], v[84:85]                      // 000000006A38: D3B14004 1802A904
	v_pk_mul_f32 v[6:7], v[6:7], v[86:87]                      // 000000006A40: D3B14006 1802AD06
	v_pk_mul_f32 v[4:5], v[4:5], s[60:61]                      // 000000006A48: D3B14004 18007904
	v_pk_mul_f32 v[6:7], v[6:7], s[60:61]                      // 000000006A50: D3B14006 18007906
	v_exp_f32_e32 v4, v4                                       // 000000006A58: 7E084104
	v_exp_f32_e32 v5, v5                                       // 000000006A5C: 7E0A4105
	v_exp_f32_e32 v6, v6                                       // 000000006A60: 7E0C4106
	v_exp_f32_e32 v7, v7                                       // 000000006A64: 7E0E4107
	v_add_f32_e64 v4, v4, 1.0                                  // 000000006A68: D1010004 0001E504
	v_add_f32_e64 v5, v5, 1.0                                  // 000000006A70: D1010005 0001E505
	v_add_f32_e64 v6, v6, 1.0                                  // 000000006A78: D1010006 0001E506
	v_add_f32_e64 v7, v7, 1.0                                  // 000000006A80: D1010007 0001E507
	v_rcp_f32_e32 v4, v4                                       // 000000006A88: 7E084504
	v_rcp_f32_e32 v5, v5                                       // 000000006A8C: 7E0A4505
	v_rcp_f32_e32 v6, v6                                       // 000000006A90: 7E0C4506
	v_rcp_f32_e32 v7, v7                                       // 000000006A94: 7E0E4507
	v_mul_f32_e32 v84, v84, v4                                 // 000000006A98: 0AA80954
	v_mul_f32_e32 v85, v85, v5                                 // 000000006A9C: 0AAA0B55
	v_mul_f32_e32 v86, v86, v6                                 // 000000006AA0: 0AAC0D56
	v_mul_f32_e32 v87, v87, v7                                 // 000000006AA4: 0AAE0F57
	v_mul_f32_e32 v84, v84, v164                               // 000000006AA8: 0AA94954
	v_mul_f32_e32 v85, v85, v165                               // 000000006AAC: 0AAB4B55
	v_mul_f32_e32 v86, v86, v166                               // 000000006AB0: 0AAD4D56
	v_mul_f32_e32 v87, v87, v167                               // 000000006AB4: 0AAF4F57
	v_pk_mul_f32 v[4:5], v[88:89], v[88:89]                    // 000000006AB8: D3B14004 1802B158
	v_pk_mul_f32 v[6:7], v[90:91], v[90:91]                    // 000000006AC0: D3B14006 1802B55A
	v_pk_fma_f32 v[4:5], v[4:5], s[78:79], v[8:9]              // 000000006AC8: D3B04004 1C209D04
	v_pk_fma_f32 v[6:7], v[6:7], s[78:79], v[8:9]              // 000000006AD0: D3B04006 1C209D06
	v_pk_mul_f32 v[4:5], v[4:5], v[88:89]                      // 000000006AD8: D3B14004 1802B104
	v_pk_mul_f32 v[6:7], v[6:7], v[90:91]                      // 000000006AE0: D3B14006 1802B506
	v_pk_mul_f32 v[4:5], v[4:5], s[60:61]                      // 000000006AE8: D3B14004 18007904
	v_pk_mul_f32 v[6:7], v[6:7], s[60:61]                      // 000000006AF0: D3B14006 18007906
	v_exp_f32_e32 v4, v4                                       // 000000006AF8: 7E084104
	v_exp_f32_e32 v5, v5                                       // 000000006AFC: 7E0A4105
	v_exp_f32_e32 v6, v6                                       // 000000006B00: 7E0C4106
	v_exp_f32_e32 v7, v7                                       // 000000006B04: 7E0E4107
	v_add_f32_e64 v4, v4, 1.0                                  // 000000006B08: D1010004 0001E504
	v_add_f32_e64 v5, v5, 1.0                                  // 000000006B10: D1010005 0001E505
	v_add_f32_e64 v6, v6, 1.0                                  // 000000006B18: D1010006 0001E506
	v_add_f32_e64 v7, v7, 1.0                                  // 000000006B20: D1010007 0001E507
	v_rcp_f32_e32 v4, v4                                       // 000000006B28: 7E084504
	v_rcp_f32_e32 v5, v5                                       // 000000006B2C: 7E0A4505
	v_rcp_f32_e32 v6, v6                                       // 000000006B30: 7E0C4506
	v_rcp_f32_e32 v7, v7                                       // 000000006B34: 7E0E4507
	v_mul_f32_e32 v88, v88, v4                                 // 000000006B38: 0AB00958
	v_mul_f32_e32 v89, v89, v5                                 // 000000006B3C: 0AB20B59
	v_mul_f32_e32 v90, v90, v6                                 // 000000006B40: 0AB40D5A
	v_mul_f32_e32 v91, v91, v7                                 // 000000006B44: 0AB60F5B
	v_mul_f32_e32 v88, v88, v168                               // 000000006B48: 0AB15158
	v_mul_f32_e32 v89, v89, v169                               // 000000006B4C: 0AB35359
	v_mul_f32_e32 v90, v90, v170                               // 000000006B50: 0AB5555A
	v_mul_f32_e32 v91, v91, v171                               // 000000006B54: 0AB7575B
	v_pk_mul_f32 v[4:5], v[92:93], v[92:93]                    // 000000006B58: D3B14004 1802B95C
	v_pk_mul_f32 v[6:7], v[94:95], v[94:95]                    // 000000006B60: D3B14006 1802BD5E
	v_pk_fma_f32 v[4:5], v[4:5], s[78:79], v[8:9]              // 000000006B68: D3B04004 1C209D04
	v_pk_fma_f32 v[6:7], v[6:7], s[78:79], v[8:9]              // 000000006B70: D3B04006 1C209D06
	v_pk_mul_f32 v[4:5], v[4:5], v[92:93]                      // 000000006B78: D3B14004 1802B904
	v_pk_mul_f32 v[6:7], v[6:7], v[94:95]                      // 000000006B80: D3B14006 1802BD06
	v_pk_mul_f32 v[4:5], v[4:5], s[60:61]                      // 000000006B88: D3B14004 18007904
	v_pk_mul_f32 v[6:7], v[6:7], s[60:61]                      // 000000006B90: D3B14006 18007906
	v_exp_f32_e32 v4, v4                                       // 000000006B98: 7E084104
	v_exp_f32_e32 v5, v5                                       // 000000006B9C: 7E0A4105
	v_exp_f32_e32 v6, v6                                       // 000000006BA0: 7E0C4106
	v_exp_f32_e32 v7, v7                                       // 000000006BA4: 7E0E4107
	v_add_f32_e64 v4, v4, 1.0                                  // 000000006BA8: D1010004 0001E504
	v_add_f32_e64 v5, v5, 1.0                                  // 000000006BB0: D1010005 0001E505
	v_add_f32_e64 v6, v6, 1.0                                  // 000000006BB8: D1010006 0001E506
	v_add_f32_e64 v7, v7, 1.0                                  // 000000006BC0: D1010007 0001E507
	v_rcp_f32_e32 v4, v4                                       // 000000006BC8: 7E084504
	v_rcp_f32_e32 v5, v5                                       // 000000006BCC: 7E0A4505
	v_rcp_f32_e32 v6, v6                                       // 000000006BD0: 7E0C4506
	v_rcp_f32_e32 v7, v7                                       // 000000006BD4: 7E0E4507
	v_mul_f32_e32 v92, v92, v4                                 // 000000006BD8: 0AB8095C
	v_mul_f32_e32 v93, v93, v5                                 // 000000006BDC: 0ABA0B5D
	v_mul_f32_e32 v94, v94, v6                                 // 000000006BE0: 0ABC0D5E
	v_mul_f32_e32 v95, v95, v7                                 // 000000006BE4: 0ABE0F5F
	v_mul_f32_e32 v92, v92, v172                               // 000000006BE8: 0AB9595C
	v_mul_f32_e32 v93, v93, v173                               // 000000006BEC: 0ABB5B5D
	v_mul_f32_e32 v94, v94, v174                               // 000000006BF0: 0ABD5D5E
	v_mul_f32_e32 v95, v95, v175                               // 000000006BF4: 0ABF5F5F
	v_pk_mul_f32 v[4:5], v[96:97], v[96:97]                    // 000000006BF8: D3B14004 1802C160
	v_pk_mul_f32 v[6:7], v[98:99], v[98:99]                    // 000000006C00: D3B14006 1802C562
	v_pk_fma_f32 v[4:5], v[4:5], s[78:79], v[8:9]              // 000000006C08: D3B04004 1C209D04
	v_pk_fma_f32 v[6:7], v[6:7], s[78:79], v[8:9]              // 000000006C10: D3B04006 1C209D06
	v_pk_mul_f32 v[4:5], v[4:5], v[96:97]                      // 000000006C18: D3B14004 1802C104
	v_pk_mul_f32 v[6:7], v[6:7], v[98:99]                      // 000000006C20: D3B14006 1802C506
	v_pk_mul_f32 v[4:5], v[4:5], s[60:61]                      // 000000006C28: D3B14004 18007904
	v_pk_mul_f32 v[6:7], v[6:7], s[60:61]                      // 000000006C30: D3B14006 18007906
	v_exp_f32_e32 v4, v4                                       // 000000006C38: 7E084104
	v_exp_f32_e32 v5, v5                                       // 000000006C3C: 7E0A4105
	v_exp_f32_e32 v6, v6                                       // 000000006C40: 7E0C4106
	v_exp_f32_e32 v7, v7                                       // 000000006C44: 7E0E4107
	v_add_f32_e64 v4, v4, 1.0                                  // 000000006C48: D1010004 0001E504
	v_add_f32_e64 v5, v5, 1.0                                  // 000000006C50: D1010005 0001E505
	v_add_f32_e64 v6, v6, 1.0                                  // 000000006C58: D1010006 0001E506
	v_add_f32_e64 v7, v7, 1.0                                  // 000000006C60: D1010007 0001E507
	v_rcp_f32_e32 v4, v4                                       // 000000006C68: 7E084504
	v_rcp_f32_e32 v5, v5                                       // 000000006C6C: 7E0A4505
	v_rcp_f32_e32 v6, v6                                       // 000000006C70: 7E0C4506
	v_rcp_f32_e32 v7, v7                                       // 000000006C74: 7E0E4507
	v_mul_f32_e32 v96, v96, v4                                 // 000000006C78: 0AC00960
	v_mul_f32_e32 v97, v97, v5                                 // 000000006C7C: 0AC20B61
	v_mul_f32_e32 v98, v98, v6                                 // 000000006C80: 0AC40D62
	v_mul_f32_e32 v99, v99, v7                                 // 000000006C84: 0AC60F63
	v_mul_f32_e32 v96, v96, v176                               // 000000006C88: 0AC16160
	v_mul_f32_e32 v97, v97, v177                               // 000000006C8C: 0AC36361
	v_mul_f32_e32 v98, v98, v178                               // 000000006C90: 0AC56562
	v_mul_f32_e32 v99, v99, v179                               // 000000006C94: 0AC76763
	v_pk_mul_f32 v[4:5], v[100:101], v[100:101]                // 000000006C98: D3B14004 1802C964
	v_pk_mul_f32 v[6:7], v[102:103], v[102:103]                // 000000006CA0: D3B14006 1802CD66
	v_pk_fma_f32 v[4:5], v[4:5], s[78:79], v[8:9]              // 000000006CA8: D3B04004 1C209D04
	v_pk_fma_f32 v[6:7], v[6:7], s[78:79], v[8:9]              // 000000006CB0: D3B04006 1C209D06
	v_pk_mul_f32 v[4:5], v[4:5], v[100:101]                    // 000000006CB8: D3B14004 1802C904
	v_pk_mul_f32 v[6:7], v[6:7], v[102:103]                    // 000000006CC0: D3B14006 1802CD06
	v_pk_mul_f32 v[4:5], v[4:5], s[60:61]                      // 000000006CC8: D3B14004 18007904
	v_pk_mul_f32 v[6:7], v[6:7], s[60:61]                      // 000000006CD0: D3B14006 18007906
	v_exp_f32_e32 v4, v4                                       // 000000006CD8: 7E084104
	v_exp_f32_e32 v5, v5                                       // 000000006CDC: 7E0A4105
	v_exp_f32_e32 v6, v6                                       // 000000006CE0: 7E0C4106
	v_exp_f32_e32 v7, v7                                       // 000000006CE4: 7E0E4107
	v_add_f32_e64 v4, v4, 1.0                                  // 000000006CE8: D1010004 0001E504
	v_add_f32_e64 v5, v5, 1.0                                  // 000000006CF0: D1010005 0001E505
	v_add_f32_e64 v6, v6, 1.0                                  // 000000006CF8: D1010006 0001E506
	v_add_f32_e64 v7, v7, 1.0                                  // 000000006D00: D1010007 0001E507
	v_rcp_f32_e32 v4, v4                                       // 000000006D08: 7E084504
	v_rcp_f32_e32 v5, v5                                       // 000000006D0C: 7E0A4505
	v_rcp_f32_e32 v6, v6                                       // 000000006D10: 7E0C4506
	v_rcp_f32_e32 v7, v7                                       // 000000006D14: 7E0E4507
	v_mul_f32_e32 v100, v100, v4                               // 000000006D18: 0AC80964
	v_mul_f32_e32 v101, v101, v5                               // 000000006D1C: 0ACA0B65
	v_mul_f32_e32 v102, v102, v6                               // 000000006D20: 0ACC0D66
	v_mul_f32_e32 v103, v103, v7                               // 000000006D24: 0ACE0F67
	v_mul_f32_e32 v100, v100, v180                             // 000000006D28: 0AC96964
	v_mul_f32_e32 v101, v101, v181                             // 000000006D2C: 0ACB6B65
	v_mul_f32_e32 v102, v102, v182                             // 000000006D30: 0ACD6D66
	v_mul_f32_e32 v103, v103, v183                             // 000000006D34: 0ACF6F67
	v_pk_mul_f32 v[4:5], v[104:105], v[104:105]                // 000000006D38: D3B14004 1802D168
	v_pk_mul_f32 v[6:7], v[106:107], v[106:107]                // 000000006D40: D3B14006 1802D56A
	v_pk_fma_f32 v[4:5], v[4:5], s[78:79], v[8:9]              // 000000006D48: D3B04004 1C209D04
	v_pk_fma_f32 v[6:7], v[6:7], s[78:79], v[8:9]              // 000000006D50: D3B04006 1C209D06
	v_pk_mul_f32 v[4:5], v[4:5], v[104:105]                    // 000000006D58: D3B14004 1802D104
	v_pk_mul_f32 v[6:7], v[6:7], v[106:107]                    // 000000006D60: D3B14006 1802D506
	v_pk_mul_f32 v[4:5], v[4:5], s[60:61]                      // 000000006D68: D3B14004 18007904
	v_pk_mul_f32 v[6:7], v[6:7], s[60:61]                      // 000000006D70: D3B14006 18007906
	v_exp_f32_e32 v4, v4                                       // 000000006D78: 7E084104
	v_exp_f32_e32 v5, v5                                       // 000000006D7C: 7E0A4105
	v_exp_f32_e32 v6, v6                                       // 000000006D80: 7E0C4106
	v_exp_f32_e32 v7, v7                                       // 000000006D84: 7E0E4107
	v_add_f32_e64 v4, v4, 1.0                                  // 000000006D88: D1010004 0001E504
	v_add_f32_e64 v5, v5, 1.0                                  // 000000006D90: D1010005 0001E505
	v_add_f32_e64 v6, v6, 1.0                                  // 000000006D98: D1010006 0001E506
	v_add_f32_e64 v7, v7, 1.0                                  // 000000006DA0: D1010007 0001E507
	v_rcp_f32_e32 v4, v4                                       // 000000006DA8: 7E084504
	v_rcp_f32_e32 v5, v5                                       // 000000006DAC: 7E0A4505
	v_rcp_f32_e32 v6, v6                                       // 000000006DB0: 7E0C4506
	v_rcp_f32_e32 v7, v7                                       // 000000006DB4: 7E0E4507
	v_mul_f32_e32 v104, v104, v4                               // 000000006DB8: 0AD00968
	v_mul_f32_e32 v105, v105, v5                               // 000000006DBC: 0AD20B69
	v_mul_f32_e32 v106, v106, v6                               // 000000006DC0: 0AD40D6A
	v_mul_f32_e32 v107, v107, v7                               // 000000006DC4: 0AD60F6B
	v_mul_f32_e32 v104, v104, v184                             // 000000006DC8: 0AD17168
	v_mul_f32_e32 v105, v105, v185                             // 000000006DCC: 0AD37369
	v_mul_f32_e32 v106, v106, v186                             // 000000006DD0: 0AD5756A
	v_mul_f32_e32 v107, v107, v187                             // 000000006DD4: 0AD7776B
	v_pk_mul_f32 v[4:5], v[108:109], v[108:109]                // 000000006DD8: D3B14004 1802D96C
	v_pk_mul_f32 v[6:7], v[110:111], v[110:111]                // 000000006DE0: D3B14006 1802DD6E
	v_pk_fma_f32 v[4:5], v[4:5], s[78:79], v[8:9]              // 000000006DE8: D3B04004 1C209D04
	v_pk_fma_f32 v[6:7], v[6:7], s[78:79], v[8:9]              // 000000006DF0: D3B04006 1C209D06
	v_pk_mul_f32 v[4:5], v[4:5], v[108:109]                    // 000000006DF8: D3B14004 1802D904
	v_pk_mul_f32 v[6:7], v[6:7], v[110:111]                    // 000000006E00: D3B14006 1802DD06
	v_pk_mul_f32 v[4:5], v[4:5], s[60:61]                      // 000000006E08: D3B14004 18007904
	v_pk_mul_f32 v[6:7], v[6:7], s[60:61]                      // 000000006E10: D3B14006 18007906
	v_exp_f32_e32 v4, v4                                       // 000000006E18: 7E084104
	v_exp_f32_e32 v5, v5                                       // 000000006E1C: 7E0A4105
	v_exp_f32_e32 v6, v6                                       // 000000006E20: 7E0C4106
	v_exp_f32_e32 v7, v7                                       // 000000006E24: 7E0E4107
	v_add_f32_e64 v4, v4, 1.0                                  // 000000006E28: D1010004 0001E504
	v_add_f32_e64 v5, v5, 1.0                                  // 000000006E30: D1010005 0001E505
	v_add_f32_e64 v6, v6, 1.0                                  // 000000006E38: D1010006 0001E506
	v_add_f32_e64 v7, v7, 1.0                                  // 000000006E40: D1010007 0001E507
	v_rcp_f32_e32 v4, v4                                       // 000000006E48: 7E084504
	v_rcp_f32_e32 v5, v5                                       // 000000006E4C: 7E0A4505
	v_rcp_f32_e32 v6, v6                                       // 000000006E50: 7E0C4506
	v_rcp_f32_e32 v7, v7                                       // 000000006E54: 7E0E4507
	v_mul_f32_e32 v108, v108, v4                               // 000000006E58: 0AD8096C
	v_mul_f32_e32 v109, v109, v5                               // 000000006E5C: 0ADA0B6D
	v_mul_f32_e32 v110, v110, v6                               // 000000006E60: 0ADC0D6E
	v_mul_f32_e32 v111, v111, v7                               // 000000006E64: 0ADE0F6F
	v_mul_f32_e32 v108, v108, v188                             // 000000006E68: 0AD9796C
	v_mul_f32_e32 v109, v109, v189                             // 000000006E6C: 0ADB7B6D
	v_mul_f32_e32 v110, v110, v190                             // 000000006E70: 0ADD7D6E
	v_mul_f32_e32 v111, v111, v191                             // 000000006E74: 0ADF7F6F
	v_pk_mul_f32 v[4:5], v[112:113], v[112:113]                // 000000006E78: D3B14004 1802E170
	v_pk_mul_f32 v[6:7], v[114:115], v[114:115]                // 000000006E80: D3B14006 1802E572
	v_pk_fma_f32 v[4:5], v[4:5], s[78:79], v[8:9]              // 000000006E88: D3B04004 1C209D04
	v_pk_fma_f32 v[6:7], v[6:7], s[78:79], v[8:9]              // 000000006E90: D3B04006 1C209D06
	v_pk_mul_f32 v[4:5], v[4:5], v[112:113]                    // 000000006E98: D3B14004 1802E104
	v_pk_mul_f32 v[6:7], v[6:7], v[114:115]                    // 000000006EA0: D3B14006 1802E506
	v_pk_mul_f32 v[4:5], v[4:5], s[60:61]                      // 000000006EA8: D3B14004 18007904
	v_pk_mul_f32 v[6:7], v[6:7], s[60:61]                      // 000000006EB0: D3B14006 18007906
	v_exp_f32_e32 v4, v4                                       // 000000006EB8: 7E084104
	v_exp_f32_e32 v5, v5                                       // 000000006EBC: 7E0A4105
	v_exp_f32_e32 v6, v6                                       // 000000006EC0: 7E0C4106
	v_exp_f32_e32 v7, v7                                       // 000000006EC4: 7E0E4107
	v_add_f32_e64 v4, v4, 1.0                                  // 000000006EC8: D1010004 0001E504
	v_add_f32_e64 v5, v5, 1.0                                  // 000000006ED0: D1010005 0001E505
	v_add_f32_e64 v6, v6, 1.0                                  // 000000006ED8: D1010006 0001E506
	v_add_f32_e64 v7, v7, 1.0                                  // 000000006EE0: D1010007 0001E507
	v_rcp_f32_e32 v4, v4                                       // 000000006EE8: 7E084504
	v_rcp_f32_e32 v5, v5                                       // 000000006EEC: 7E0A4505
	v_rcp_f32_e32 v6, v6                                       // 000000006EF0: 7E0C4506
	v_rcp_f32_e32 v7, v7                                       // 000000006EF4: 7E0E4507
	v_mul_f32_e32 v112, v112, v4                               // 000000006EF8: 0AE00970
	v_mul_f32_e32 v113, v113, v5                               // 000000006EFC: 0AE20B71
	v_mul_f32_e32 v114, v114, v6                               // 000000006F00: 0AE40D72
	v_mul_f32_e32 v115, v115, v7                               // 000000006F04: 0AE60F73
	v_mul_f32_e32 v112, v112, v192                             // 000000006F08: 0AE18170
	v_mul_f32_e32 v113, v113, v193                             // 000000006F0C: 0AE38371
	v_mul_f32_e32 v114, v114, v194                             // 000000006F10: 0AE58572
	v_mul_f32_e32 v115, v115, v195                             // 000000006F14: 0AE78773
	v_pk_mul_f32 v[4:5], v[116:117], v[116:117]                // 000000006F18: D3B14004 1802E974
	v_pk_mul_f32 v[6:7], v[118:119], v[118:119]                // 000000006F20: D3B14006 1802ED76
	v_pk_fma_f32 v[4:5], v[4:5], s[78:79], v[8:9]              // 000000006F28: D3B04004 1C209D04
	v_pk_fma_f32 v[6:7], v[6:7], s[78:79], v[8:9]              // 000000006F30: D3B04006 1C209D06
	v_pk_mul_f32 v[4:5], v[4:5], v[116:117]                    // 000000006F38: D3B14004 1802E904
	v_pk_mul_f32 v[6:7], v[6:7], v[118:119]                    // 000000006F40: D3B14006 1802ED06
	v_pk_mul_f32 v[4:5], v[4:5], s[60:61]                      // 000000006F48: D3B14004 18007904
	v_pk_mul_f32 v[6:7], v[6:7], s[60:61]                      // 000000006F50: D3B14006 18007906
	v_exp_f32_e32 v4, v4                                       // 000000006F58: 7E084104
	v_exp_f32_e32 v5, v5                                       // 000000006F5C: 7E0A4105
	v_exp_f32_e32 v6, v6                                       // 000000006F60: 7E0C4106
	v_exp_f32_e32 v7, v7                                       // 000000006F64: 7E0E4107
	v_add_f32_e64 v4, v4, 1.0                                  // 000000006F68: D1010004 0001E504
	v_add_f32_e64 v5, v5, 1.0                                  // 000000006F70: D1010005 0001E505
	v_add_f32_e64 v6, v6, 1.0                                  // 000000006F78: D1010006 0001E506
	v_add_f32_e64 v7, v7, 1.0                                  // 000000006F80: D1010007 0001E507
	v_rcp_f32_e32 v4, v4                                       // 000000006F88: 7E084504
	v_rcp_f32_e32 v5, v5                                       // 000000006F8C: 7E0A4505
	v_rcp_f32_e32 v6, v6                                       // 000000006F90: 7E0C4506
	v_rcp_f32_e32 v7, v7                                       // 000000006F94: 7E0E4507
	v_mul_f32_e32 v116, v116, v4                               // 000000006F98: 0AE80974
	v_mul_f32_e32 v117, v117, v5                               // 000000006F9C: 0AEA0B75
	v_mul_f32_e32 v118, v118, v6                               // 000000006FA0: 0AEC0D76
	v_mul_f32_e32 v119, v119, v7                               // 000000006FA4: 0AEE0F77
	v_mul_f32_e32 v116, v116, v196                             // 000000006FA8: 0AE98974
	v_mul_f32_e32 v117, v117, v197                             // 000000006FAC: 0AEB8B75
	v_mul_f32_e32 v118, v118, v198                             // 000000006FB0: 0AED8D76
	v_mul_f32_e32 v119, v119, v199                             // 000000006FB4: 0AEF8F77
	v_pk_mul_f32 v[4:5], v[120:121], v[120:121]                // 000000006FB8: D3B14004 1802F178
	v_pk_mul_f32 v[6:7], v[122:123], v[122:123]                // 000000006FC0: D3B14006 1802F57A
	v_pk_fma_f32 v[4:5], v[4:5], s[78:79], v[8:9]              // 000000006FC8: D3B04004 1C209D04
	v_pk_fma_f32 v[6:7], v[6:7], s[78:79], v[8:9]              // 000000006FD0: D3B04006 1C209D06
	v_pk_mul_f32 v[4:5], v[4:5], v[120:121]                    // 000000006FD8: D3B14004 1802F104
	v_pk_mul_f32 v[6:7], v[6:7], v[122:123]                    // 000000006FE0: D3B14006 1802F506
	v_pk_mul_f32 v[4:5], v[4:5], s[60:61]                      // 000000006FE8: D3B14004 18007904
	v_pk_mul_f32 v[6:7], v[6:7], s[60:61]                      // 000000006FF0: D3B14006 18007906
	v_exp_f32_e32 v4, v4                                       // 000000006FF8: 7E084104
	v_exp_f32_e32 v5, v5                                       // 000000006FFC: 7E0A4105
	v_exp_f32_e32 v6, v6                                       // 000000007000: 7E0C4106
	v_exp_f32_e32 v7, v7                                       // 000000007004: 7E0E4107
	v_add_f32_e64 v4, v4, 1.0                                  // 000000007008: D1010004 0001E504
	v_add_f32_e64 v5, v5, 1.0                                  // 000000007010: D1010005 0001E505
	v_add_f32_e64 v6, v6, 1.0                                  // 000000007018: D1010006 0001E506
	v_add_f32_e64 v7, v7, 1.0                                  // 000000007020: D1010007 0001E507
	v_rcp_f32_e32 v4, v4                                       // 000000007028: 7E084504
	v_rcp_f32_e32 v5, v5                                       // 00000000702C: 7E0A4505
	v_rcp_f32_e32 v6, v6                                       // 000000007030: 7E0C4506
	v_rcp_f32_e32 v7, v7                                       // 000000007034: 7E0E4507
	v_mul_f32_e32 v120, v120, v4                               // 000000007038: 0AF00978
	v_mul_f32_e32 v121, v121, v5                               // 00000000703C: 0AF20B79
	v_mul_f32_e32 v122, v122, v6                               // 000000007040: 0AF40D7A
	v_mul_f32_e32 v123, v123, v7                               // 000000007044: 0AF60F7B
	v_mul_f32_e32 v120, v120, v200                             // 000000007048: 0AF19178
	v_mul_f32_e32 v121, v121, v201                             // 00000000704C: 0AF39379
	v_mul_f32_e32 v122, v122, v202                             // 000000007050: 0AF5957A
	v_mul_f32_e32 v123, v123, v203                             // 000000007054: 0AF7977B
	v_pk_mul_f32 v[4:5], v[124:125], v[124:125]                // 000000007058: D3B14004 1802F97C
	v_pk_mul_f32 v[6:7], v[126:127], v[126:127]                // 000000007060: D3B14006 1802FD7E
	v_pk_fma_f32 v[4:5], v[4:5], s[78:79], v[8:9]              // 000000007068: D3B04004 1C209D04
	v_pk_fma_f32 v[6:7], v[6:7], s[78:79], v[8:9]              // 000000007070: D3B04006 1C209D06
	v_pk_mul_f32 v[4:5], v[4:5], v[124:125]                    // 000000007078: D3B14004 1802F904
	v_pk_mul_f32 v[6:7], v[6:7], v[126:127]                    // 000000007080: D3B14006 1802FD06
	v_pk_mul_f32 v[4:5], v[4:5], s[60:61]                      // 000000007088: D3B14004 18007904
	v_pk_mul_f32 v[6:7], v[6:7], s[60:61]                      // 000000007090: D3B14006 18007906
	v_exp_f32_e32 v4, v4                                       // 000000007098: 7E084104
	v_exp_f32_e32 v5, v5                                       // 00000000709C: 7E0A4105
	v_exp_f32_e32 v6, v6                                       // 0000000070A0: 7E0C4106
	v_exp_f32_e32 v7, v7                                       // 0000000070A4: 7E0E4107
	v_add_f32_e64 v4, v4, 1.0                                  // 0000000070A8: D1010004 0001E504
	v_add_f32_e64 v5, v5, 1.0                                  // 0000000070B0: D1010005 0001E505
	v_add_f32_e64 v6, v6, 1.0                                  // 0000000070B8: D1010006 0001E506
	v_add_f32_e64 v7, v7, 1.0                                  // 0000000070C0: D1010007 0001E507
	v_rcp_f32_e32 v4, v4                                       // 0000000070C8: 7E084504
	v_rcp_f32_e32 v5, v5                                       // 0000000070CC: 7E0A4505
	v_rcp_f32_e32 v6, v6                                       // 0000000070D0: 7E0C4506
	v_rcp_f32_e32 v7, v7                                       // 0000000070D4: 7E0E4507
	v_mul_f32_e32 v124, v124, v4                               // 0000000070D8: 0AF8097C
	v_mul_f32_e32 v125, v125, v5                               // 0000000070DC: 0AFA0B7D
	v_mul_f32_e32 v126, v126, v6                               // 0000000070E0: 0AFC0D7E
	v_mul_f32_e32 v127, v127, v7                               // 0000000070E4: 0AFE0F7F
	v_mul_f32_e32 v124, v124, v204                             // 0000000070E8: 0AF9997C
	v_mul_f32_e32 v125, v125, v205                             // 0000000070EC: 0AFB9B7D
	v_mul_f32_e32 v126, v126, v206                             // 0000000070F0: 0AFD9D7E
	v_mul_f32_e32 v127, v127, v207                             // 0000000070F4: 0AFF9F7F
	v_pk_mul_f32 v[4:5], v[128:129], v[128:129]                // 0000000070F8: D3B14004 18030180
	v_pk_mul_f32 v[6:7], v[130:131], v[130:131]                // 000000007100: D3B14006 18030582
	v_pk_fma_f32 v[4:5], v[4:5], s[78:79], v[8:9]              // 000000007108: D3B04004 1C209D04
	v_pk_fma_f32 v[6:7], v[6:7], s[78:79], v[8:9]              // 000000007110: D3B04006 1C209D06
	v_pk_mul_f32 v[4:5], v[4:5], v[128:129]                    // 000000007118: D3B14004 18030104
	v_pk_mul_f32 v[6:7], v[6:7], v[130:131]                    // 000000007120: D3B14006 18030506
	v_pk_mul_f32 v[4:5], v[4:5], s[60:61]                      // 000000007128: D3B14004 18007904
	v_pk_mul_f32 v[6:7], v[6:7], s[60:61]                      // 000000007130: D3B14006 18007906
	v_exp_f32_e32 v4, v4                                       // 000000007138: 7E084104
	v_exp_f32_e32 v5, v5                                       // 00000000713C: 7E0A4105
	v_exp_f32_e32 v6, v6                                       // 000000007140: 7E0C4106
	v_exp_f32_e32 v7, v7                                       // 000000007144: 7E0E4107
	v_add_f32_e64 v4, v4, 1.0                                  // 000000007148: D1010004 0001E504
	v_add_f32_e64 v5, v5, 1.0                                  // 000000007150: D1010005 0001E505
	v_add_f32_e64 v6, v6, 1.0                                  // 000000007158: D1010006 0001E506
	v_add_f32_e64 v7, v7, 1.0                                  // 000000007160: D1010007 0001E507
	v_rcp_f32_e32 v4, v4                                       // 000000007168: 7E084504
	v_rcp_f32_e32 v5, v5                                       // 00000000716C: 7E0A4505
	v_rcp_f32_e32 v6, v6                                       // 000000007170: 7E0C4506
	v_rcp_f32_e32 v7, v7                                       // 000000007174: 7E0E4507
	v_mul_f32_e32 v128, v128, v4                               // 000000007178: 0B000980
	v_mul_f32_e32 v129, v129, v5                               // 00000000717C: 0B020B81
	v_mul_f32_e32 v130, v130, v6                               // 000000007180: 0B040D82
	v_mul_f32_e32 v131, v131, v7                               // 000000007184: 0B060F83
	v_mul_f32_e32 v128, v128, v208                             // 000000007188: 0B01A180
	v_mul_f32_e32 v129, v129, v209                             // 00000000718C: 0B03A381
	v_mul_f32_e32 v130, v130, v210                             // 000000007190: 0B05A582
	v_mul_f32_e32 v131, v131, v211                             // 000000007194: 0B07A783
	v_pk_mul_f32 v[4:5], v[132:133], v[132:133]                // 000000007198: D3B14004 18030984
	v_pk_mul_f32 v[6:7], v[134:135], v[134:135]                // 0000000071A0: D3B14006 18030D86
	v_pk_fma_f32 v[4:5], v[4:5], s[78:79], v[8:9]              // 0000000071A8: D3B04004 1C209D04
	v_pk_fma_f32 v[6:7], v[6:7], s[78:79], v[8:9]              // 0000000071B0: D3B04006 1C209D06
	v_pk_mul_f32 v[4:5], v[4:5], v[132:133]                    // 0000000071B8: D3B14004 18030904
	v_pk_mul_f32 v[6:7], v[6:7], v[134:135]                    // 0000000071C0: D3B14006 18030D06
	v_pk_mul_f32 v[4:5], v[4:5], s[60:61]                      // 0000000071C8: D3B14004 18007904
	v_pk_mul_f32 v[6:7], v[6:7], s[60:61]                      // 0000000071D0: D3B14006 18007906
	v_exp_f32_e32 v4, v4                                       // 0000000071D8: 7E084104
	v_exp_f32_e32 v5, v5                                       // 0000000071DC: 7E0A4105
	v_exp_f32_e32 v6, v6                                       // 0000000071E0: 7E0C4106
	v_exp_f32_e32 v7, v7                                       // 0000000071E4: 7E0E4107
	v_add_f32_e64 v4, v4, 1.0                                  // 0000000071E8: D1010004 0001E504
	v_add_f32_e64 v5, v5, 1.0                                  // 0000000071F0: D1010005 0001E505
	v_add_f32_e64 v6, v6, 1.0                                  // 0000000071F8: D1010006 0001E506
	v_add_f32_e64 v7, v7, 1.0                                  // 000000007200: D1010007 0001E507
	v_rcp_f32_e32 v4, v4                                       // 000000007208: 7E084504
	v_rcp_f32_e32 v5, v5                                       // 00000000720C: 7E0A4505
	v_rcp_f32_e32 v6, v6                                       // 000000007210: 7E0C4506
	v_rcp_f32_e32 v7, v7                                       // 000000007214: 7E0E4507
	v_mul_f32_e32 v132, v132, v4                               // 000000007218: 0B080984
	v_mul_f32_e32 v133, v133, v5                               // 00000000721C: 0B0A0B85
	v_mul_f32_e32 v134, v134, v6                               // 000000007220: 0B0C0D86
	v_mul_f32_e32 v135, v135, v7                               // 000000007224: 0B0E0F87
	v_mul_f32_e32 v132, v132, v212                             // 000000007228: 0B09A984
	v_mul_f32_e32 v133, v133, v213                             // 00000000722C: 0B0BAB85
	v_mul_f32_e32 v134, v134, v214                             // 000000007230: 0B0DAD86
	v_mul_f32_e32 v135, v135, v215                             // 000000007234: 0B0FAF87
	v_pk_mul_f32 v[4:5], v[136:137], v[136:137]                // 000000007238: D3B14004 18031188
	v_pk_mul_f32 v[6:7], v[138:139], v[138:139]                // 000000007240: D3B14006 1803158A
	v_pk_fma_f32 v[4:5], v[4:5], s[78:79], v[8:9]              // 000000007248: D3B04004 1C209D04
	v_pk_fma_f32 v[6:7], v[6:7], s[78:79], v[8:9]              // 000000007250: D3B04006 1C209D06
	v_pk_mul_f32 v[4:5], v[4:5], v[136:137]                    // 000000007258: D3B14004 18031104
	v_pk_mul_f32 v[6:7], v[6:7], v[138:139]                    // 000000007260: D3B14006 18031506
	v_pk_mul_f32 v[4:5], v[4:5], s[60:61]                      // 000000007268: D3B14004 18007904
	v_pk_mul_f32 v[6:7], v[6:7], s[60:61]                      // 000000007270: D3B14006 18007906
	v_exp_f32_e32 v4, v4                                       // 000000007278: 7E084104
	v_exp_f32_e32 v5, v5                                       // 00000000727C: 7E0A4105
	v_exp_f32_e32 v6, v6                                       // 000000007280: 7E0C4106
	v_exp_f32_e32 v7, v7                                       // 000000007284: 7E0E4107
	v_add_f32_e64 v4, v4, 1.0                                  // 000000007288: D1010004 0001E504
	v_add_f32_e64 v5, v5, 1.0                                  // 000000007290: D1010005 0001E505
	v_add_f32_e64 v6, v6, 1.0                                  // 000000007298: D1010006 0001E506
	v_add_f32_e64 v7, v7, 1.0                                  // 0000000072A0: D1010007 0001E507
	v_rcp_f32_e32 v4, v4                                       // 0000000072A8: 7E084504
	v_rcp_f32_e32 v5, v5                                       // 0000000072AC: 7E0A4505
	v_rcp_f32_e32 v6, v6                                       // 0000000072B0: 7E0C4506
	v_rcp_f32_e32 v7, v7                                       // 0000000072B4: 7E0E4507
	v_mul_f32_e32 v136, v136, v4                               // 0000000072B8: 0B100988
	v_mul_f32_e32 v137, v137, v5                               // 0000000072BC: 0B120B89
	v_mul_f32_e32 v138, v138, v6                               // 0000000072C0: 0B140D8A
	v_mul_f32_e32 v139, v139, v7                               // 0000000072C4: 0B160F8B
	v_mul_f32_e32 v136, v136, v216                             // 0000000072C8: 0B11B188
	v_mul_f32_e32 v137, v137, v217                             // 0000000072CC: 0B13B389
	v_mul_f32_e32 v138, v138, v218                             // 0000000072D0: 0B15B58A
	v_mul_f32_e32 v139, v139, v219                             // 0000000072D4: 0B17B78B
	v_pk_mul_f32 v[4:5], v[140:141], v[140:141]                // 0000000072D8: D3B14004 1803198C
	v_pk_mul_f32 v[6:7], v[142:143], v[142:143]                // 0000000072E0: D3B14006 18031D8E
	v_pk_fma_f32 v[4:5], v[4:5], s[78:79], v[8:9]              // 0000000072E8: D3B04004 1C209D04
	v_pk_fma_f32 v[6:7], v[6:7], s[78:79], v[8:9]              // 0000000072F0: D3B04006 1C209D06
	v_pk_mul_f32 v[4:5], v[4:5], v[140:141]                    // 0000000072F8: D3B14004 18031904
	v_pk_mul_f32 v[6:7], v[6:7], v[142:143]                    // 000000007300: D3B14006 18031D06
	v_pk_mul_f32 v[4:5], v[4:5], s[60:61]                      // 000000007308: D3B14004 18007904
	v_pk_mul_f32 v[6:7], v[6:7], s[60:61]                      // 000000007310: D3B14006 18007906
	v_exp_f32_e32 v4, v4                                       // 000000007318: 7E084104
	v_exp_f32_e32 v5, v5                                       // 00000000731C: 7E0A4105
	v_exp_f32_e32 v6, v6                                       // 000000007320: 7E0C4106
	v_exp_f32_e32 v7, v7                                       // 000000007324: 7E0E4107
	v_add_f32_e64 v4, v4, 1.0                                  // 000000007328: D1010004 0001E504
	v_add_f32_e64 v5, v5, 1.0                                  // 000000007330: D1010005 0001E505
	v_add_f32_e64 v6, v6, 1.0                                  // 000000007338: D1010006 0001E506
	v_add_f32_e64 v7, v7, 1.0                                  // 000000007340: D1010007 0001E507
	v_rcp_f32_e32 v4, v4                                       // 000000007348: 7E084504
	v_rcp_f32_e32 v5, v5                                       // 00000000734C: 7E0A4505
	v_rcp_f32_e32 v6, v6                                       // 000000007350: 7E0C4506
	v_rcp_f32_e32 v7, v7                                       // 000000007354: 7E0E4507
	v_mul_f32_e32 v140, v140, v4                               // 000000007358: 0B18098C
	v_mul_f32_e32 v141, v141, v5                               // 00000000735C: 0B1A0B8D
	v_mul_f32_e32 v142, v142, v6                               // 000000007360: 0B1C0D8E
	v_mul_f32_e32 v143, v143, v7                               // 000000007364: 0B1E0F8F
	v_mul_f32_e32 v140, v140, v220                             // 000000007368: 0B19B98C
	v_mul_f32_e32 v141, v141, v221                             // 00000000736C: 0B1BBB8D
	v_mul_f32_e32 v142, v142, v222                             // 000000007370: 0B1DBD8E
	v_mul_f32_e32 v143, v143, v223                             // 000000007374: 0B1FBF8F
	s_branch label_14DF                                        // 000000007378: BF820280

000000000000737c <label_125F>:
	v_mul_f32_e64 v4, -v64, s6                                 // 00000000737C: D1050004 20000D40
	v_mul_f32_e64 v5, -v65, s6                                 // 000000007384: D1050005 20000D41
	v_mul_f32_e64 v6, -v66, s6                                 // 00000000738C: D1050006 20000D42
	v_mul_f32_e64 v7, -v67, s6                                 // 000000007394: D1050007 20000D43
	v_exp_f32_e32 v4, v4                                       // 00000000739C: 7E084104
	v_exp_f32_e32 v5, v5                                       // 0000000073A0: 7E0A4105
	v_exp_f32_e32 v6, v6                                       // 0000000073A4: 7E0C4106
	v_exp_f32_e32 v7, v7                                       // 0000000073A8: 7E0E4107
	v_add_f32_e64 v4, v4, 1.0                                  // 0000000073AC: D1010004 0001E504
	v_add_f32_e64 v5, v5, 1.0                                  // 0000000073B4: D1010005 0001E505
	v_add_f32_e64 v6, v6, 1.0                                  // 0000000073BC: D1010006 0001E506
	v_add_f32_e64 v7, v7, 1.0                                  // 0000000073C4: D1010007 0001E507
	v_rcp_f32_e32 v4, v4                                       // 0000000073CC: 7E084504
	v_rcp_f32_e32 v5, v5                                       // 0000000073D0: 7E0A4505
	v_rcp_f32_e32 v6, v6                                       // 0000000073D4: 7E0C4506
	v_rcp_f32_e32 v7, v7                                       // 0000000073D8: 7E0E4507
	v_mul_f32_e32 v64, v64, v4                                 // 0000000073DC: 0A800940
	v_mul_f32_e32 v65, v65, v5                                 // 0000000073E0: 0A820B41
	v_mul_f32_e32 v66, v66, v6                                 // 0000000073E4: 0A840D42
	v_mul_f32_e32 v67, v67, v7                                 // 0000000073E8: 0A860F43
	v_mul_f32_e32 v64, v64, v144                               // 0000000073EC: 0A812140
	v_mul_f32_e32 v65, v65, v145                               // 0000000073F0: 0A832341
	v_mul_f32_e32 v66, v66, v146                               // 0000000073F4: 0A852542
	v_mul_f32_e32 v67, v67, v147                               // 0000000073F8: 0A872743
	v_mul_f32_e64 v4, -v68, s6                                 // 0000000073FC: D1050004 20000D44
	v_mul_f32_e64 v5, -v69, s6                                 // 000000007404: D1050005 20000D45
	v_mul_f32_e64 v6, -v70, s6                                 // 00000000740C: D1050006 20000D46
	v_mul_f32_e64 v7, -v71, s6                                 // 000000007414: D1050007 20000D47
	v_exp_f32_e32 v4, v4                                       // 00000000741C: 7E084104
	v_exp_f32_e32 v5, v5                                       // 000000007420: 7E0A4105
	v_exp_f32_e32 v6, v6                                       // 000000007424: 7E0C4106
	v_exp_f32_e32 v7, v7                                       // 000000007428: 7E0E4107
	v_add_f32_e64 v4, v4, 1.0                                  // 00000000742C: D1010004 0001E504
	v_add_f32_e64 v5, v5, 1.0                                  // 000000007434: D1010005 0001E505
	v_add_f32_e64 v6, v6, 1.0                                  // 00000000743C: D1010006 0001E506
	v_add_f32_e64 v7, v7, 1.0                                  // 000000007444: D1010007 0001E507
	v_rcp_f32_e32 v4, v4                                       // 00000000744C: 7E084504
	v_rcp_f32_e32 v5, v5                                       // 000000007450: 7E0A4505
	v_rcp_f32_e32 v6, v6                                       // 000000007454: 7E0C4506
	v_rcp_f32_e32 v7, v7                                       // 000000007458: 7E0E4507
	v_mul_f32_e32 v68, v68, v4                                 // 00000000745C: 0A880944
	v_mul_f32_e32 v69, v69, v5                                 // 000000007460: 0A8A0B45
	v_mul_f32_e32 v70, v70, v6                                 // 000000007464: 0A8C0D46
	v_mul_f32_e32 v71, v71, v7                                 // 000000007468: 0A8E0F47
	v_mul_f32_e32 v68, v68, v148                               // 00000000746C: 0A892944
	v_mul_f32_e32 v69, v69, v149                               // 000000007470: 0A8B2B45
	v_mul_f32_e32 v70, v70, v150                               // 000000007474: 0A8D2D46
	v_mul_f32_e32 v71, v71, v151                               // 000000007478: 0A8F2F47
	v_mul_f32_e64 v4, -v72, s6                                 // 00000000747C: D1050004 20000D48
	v_mul_f32_e64 v5, -v73, s6                                 // 000000007484: D1050005 20000D49
	v_mul_f32_e64 v6, -v74, s6                                 // 00000000748C: D1050006 20000D4A
	v_mul_f32_e64 v7, -v75, s6                                 // 000000007494: D1050007 20000D4B
	v_exp_f32_e32 v4, v4                                       // 00000000749C: 7E084104
	v_exp_f32_e32 v5, v5                                       // 0000000074A0: 7E0A4105
	v_exp_f32_e32 v6, v6                                       // 0000000074A4: 7E0C4106
	v_exp_f32_e32 v7, v7                                       // 0000000074A8: 7E0E4107
	v_add_f32_e64 v4, v4, 1.0                                  // 0000000074AC: D1010004 0001E504
	v_add_f32_e64 v5, v5, 1.0                                  // 0000000074B4: D1010005 0001E505
	v_add_f32_e64 v6, v6, 1.0                                  // 0000000074BC: D1010006 0001E506
	v_add_f32_e64 v7, v7, 1.0                                  // 0000000074C4: D1010007 0001E507
	v_rcp_f32_e32 v4, v4                                       // 0000000074CC: 7E084504
	v_rcp_f32_e32 v5, v5                                       // 0000000074D0: 7E0A4505
	v_rcp_f32_e32 v6, v6                                       // 0000000074D4: 7E0C4506
	v_rcp_f32_e32 v7, v7                                       // 0000000074D8: 7E0E4507
	v_mul_f32_e32 v72, v72, v4                                 // 0000000074DC: 0A900948
	v_mul_f32_e32 v73, v73, v5                                 // 0000000074E0: 0A920B49
	v_mul_f32_e32 v74, v74, v6                                 // 0000000074E4: 0A940D4A
	v_mul_f32_e32 v75, v75, v7                                 // 0000000074E8: 0A960F4B
	v_mul_f32_e32 v72, v72, v152                               // 0000000074EC: 0A913148
	v_mul_f32_e32 v73, v73, v153                               // 0000000074F0: 0A933349
	v_mul_f32_e32 v74, v74, v154                               // 0000000074F4: 0A95354A
	v_mul_f32_e32 v75, v75, v155                               // 0000000074F8: 0A97374B
	v_mul_f32_e64 v4, -v76, s6                                 // 0000000074FC: D1050004 20000D4C
	v_mul_f32_e64 v5, -v77, s6                                 // 000000007504: D1050005 20000D4D
	v_mul_f32_e64 v6, -v78, s6                                 // 00000000750C: D1050006 20000D4E
	v_mul_f32_e64 v7, -v79, s6                                 // 000000007514: D1050007 20000D4F
	v_exp_f32_e32 v4, v4                                       // 00000000751C: 7E084104
	v_exp_f32_e32 v5, v5                                       // 000000007520: 7E0A4105
	v_exp_f32_e32 v6, v6                                       // 000000007524: 7E0C4106
	v_exp_f32_e32 v7, v7                                       // 000000007528: 7E0E4107
	v_add_f32_e64 v4, v4, 1.0                                  // 00000000752C: D1010004 0001E504
	v_add_f32_e64 v5, v5, 1.0                                  // 000000007534: D1010005 0001E505
	v_add_f32_e64 v6, v6, 1.0                                  // 00000000753C: D1010006 0001E506
	v_add_f32_e64 v7, v7, 1.0                                  // 000000007544: D1010007 0001E507
	v_rcp_f32_e32 v4, v4                                       // 00000000754C: 7E084504
	v_rcp_f32_e32 v5, v5                                       // 000000007550: 7E0A4505
	v_rcp_f32_e32 v6, v6                                       // 000000007554: 7E0C4506
	v_rcp_f32_e32 v7, v7                                       // 000000007558: 7E0E4507
	v_mul_f32_e32 v76, v76, v4                                 // 00000000755C: 0A98094C
	v_mul_f32_e32 v77, v77, v5                                 // 000000007560: 0A9A0B4D
	v_mul_f32_e32 v78, v78, v6                                 // 000000007564: 0A9C0D4E
	v_mul_f32_e32 v79, v79, v7                                 // 000000007568: 0A9E0F4F
	v_mul_f32_e32 v76, v76, v156                               // 00000000756C: 0A99394C
	v_mul_f32_e32 v77, v77, v157                               // 000000007570: 0A9B3B4D
	v_mul_f32_e32 v78, v78, v158                               // 000000007574: 0A9D3D4E
	v_mul_f32_e32 v79, v79, v159                               // 000000007578: 0A9F3F4F
	v_mul_f32_e64 v4, -v80, s6                                 // 00000000757C: D1050004 20000D50
	v_mul_f32_e64 v5, -v81, s6                                 // 000000007584: D1050005 20000D51
	v_mul_f32_e64 v6, -v82, s6                                 // 00000000758C: D1050006 20000D52
	v_mul_f32_e64 v7, -v83, s6                                 // 000000007594: D1050007 20000D53
	v_exp_f32_e32 v4, v4                                       // 00000000759C: 7E084104
	v_exp_f32_e32 v5, v5                                       // 0000000075A0: 7E0A4105
	v_exp_f32_e32 v6, v6                                       // 0000000075A4: 7E0C4106
	v_exp_f32_e32 v7, v7                                       // 0000000075A8: 7E0E4107
	v_add_f32_e64 v4, v4, 1.0                                  // 0000000075AC: D1010004 0001E504
	v_add_f32_e64 v5, v5, 1.0                                  // 0000000075B4: D1010005 0001E505
	v_add_f32_e64 v6, v6, 1.0                                  // 0000000075BC: D1010006 0001E506
	v_add_f32_e64 v7, v7, 1.0                                  // 0000000075C4: D1010007 0001E507
	v_rcp_f32_e32 v4, v4                                       // 0000000075CC: 7E084504
	v_rcp_f32_e32 v5, v5                                       // 0000000075D0: 7E0A4505
	v_rcp_f32_e32 v6, v6                                       // 0000000075D4: 7E0C4506
	v_rcp_f32_e32 v7, v7                                       // 0000000075D8: 7E0E4507
	v_mul_f32_e32 v80, v80, v4                                 // 0000000075DC: 0AA00950
	v_mul_f32_e32 v81, v81, v5                                 // 0000000075E0: 0AA20B51
	v_mul_f32_e32 v82, v82, v6                                 // 0000000075E4: 0AA40D52
	v_mul_f32_e32 v83, v83, v7                                 // 0000000075E8: 0AA60F53
	v_mul_f32_e32 v80, v80, v160                               // 0000000075EC: 0AA14150
	v_mul_f32_e32 v81, v81, v161                               // 0000000075F0: 0AA34351
	v_mul_f32_e32 v82, v82, v162                               // 0000000075F4: 0AA54552
	v_mul_f32_e32 v83, v83, v163                               // 0000000075F8: 0AA74753
	v_mul_f32_e64 v4, -v84, s6                                 // 0000000075FC: D1050004 20000D54
	v_mul_f32_e64 v5, -v85, s6                                 // 000000007604: D1050005 20000D55
	v_mul_f32_e64 v6, -v86, s6                                 // 00000000760C: D1050006 20000D56
	v_mul_f32_e64 v7, -v87, s6                                 // 000000007614: D1050007 20000D57
	v_exp_f32_e32 v4, v4                                       // 00000000761C: 7E084104
	v_exp_f32_e32 v5, v5                                       // 000000007620: 7E0A4105
	v_exp_f32_e32 v6, v6                                       // 000000007624: 7E0C4106
	v_exp_f32_e32 v7, v7                                       // 000000007628: 7E0E4107
	v_add_f32_e64 v4, v4, 1.0                                  // 00000000762C: D1010004 0001E504
	v_add_f32_e64 v5, v5, 1.0                                  // 000000007634: D1010005 0001E505
	v_add_f32_e64 v6, v6, 1.0                                  // 00000000763C: D1010006 0001E506
	v_add_f32_e64 v7, v7, 1.0                                  // 000000007644: D1010007 0001E507
	v_rcp_f32_e32 v4, v4                                       // 00000000764C: 7E084504
	v_rcp_f32_e32 v5, v5                                       // 000000007650: 7E0A4505
	v_rcp_f32_e32 v6, v6                                       // 000000007654: 7E0C4506
	v_rcp_f32_e32 v7, v7                                       // 000000007658: 7E0E4507
	v_mul_f32_e32 v84, v84, v4                                 // 00000000765C: 0AA80954
	v_mul_f32_e32 v85, v85, v5                                 // 000000007660: 0AAA0B55
	v_mul_f32_e32 v86, v86, v6                                 // 000000007664: 0AAC0D56
	v_mul_f32_e32 v87, v87, v7                                 // 000000007668: 0AAE0F57
	v_mul_f32_e32 v84, v84, v164                               // 00000000766C: 0AA94954
	v_mul_f32_e32 v85, v85, v165                               // 000000007670: 0AAB4B55
	v_mul_f32_e32 v86, v86, v166                               // 000000007674: 0AAD4D56
	v_mul_f32_e32 v87, v87, v167                               // 000000007678: 0AAF4F57
	v_mul_f32_e64 v4, -v88, s6                                 // 00000000767C: D1050004 20000D58
	v_mul_f32_e64 v5, -v89, s6                                 // 000000007684: D1050005 20000D59
	v_mul_f32_e64 v6, -v90, s6                                 // 00000000768C: D1050006 20000D5A
	v_mul_f32_e64 v7, -v91, s6                                 // 000000007694: D1050007 20000D5B
	v_exp_f32_e32 v4, v4                                       // 00000000769C: 7E084104
	v_exp_f32_e32 v5, v5                                       // 0000000076A0: 7E0A4105
	v_exp_f32_e32 v6, v6                                       // 0000000076A4: 7E0C4106
	v_exp_f32_e32 v7, v7                                       // 0000000076A8: 7E0E4107
	v_add_f32_e64 v4, v4, 1.0                                  // 0000000076AC: D1010004 0001E504
	v_add_f32_e64 v5, v5, 1.0                                  // 0000000076B4: D1010005 0001E505
	v_add_f32_e64 v6, v6, 1.0                                  // 0000000076BC: D1010006 0001E506
	v_add_f32_e64 v7, v7, 1.0                                  // 0000000076C4: D1010007 0001E507
	v_rcp_f32_e32 v4, v4                                       // 0000000076CC: 7E084504
	v_rcp_f32_e32 v5, v5                                       // 0000000076D0: 7E0A4505
	v_rcp_f32_e32 v6, v6                                       // 0000000076D4: 7E0C4506
	v_rcp_f32_e32 v7, v7                                       // 0000000076D8: 7E0E4507
	v_mul_f32_e32 v88, v88, v4                                 // 0000000076DC: 0AB00958
	v_mul_f32_e32 v89, v89, v5                                 // 0000000076E0: 0AB20B59
	v_mul_f32_e32 v90, v90, v6                                 // 0000000076E4: 0AB40D5A
	v_mul_f32_e32 v91, v91, v7                                 // 0000000076E8: 0AB60F5B
	v_mul_f32_e32 v88, v88, v168                               // 0000000076EC: 0AB15158
	v_mul_f32_e32 v89, v89, v169                               // 0000000076F0: 0AB35359
	v_mul_f32_e32 v90, v90, v170                               // 0000000076F4: 0AB5555A
	v_mul_f32_e32 v91, v91, v171                               // 0000000076F8: 0AB7575B
	v_mul_f32_e64 v4, -v92, s6                                 // 0000000076FC: D1050004 20000D5C
	v_mul_f32_e64 v5, -v93, s6                                 // 000000007704: D1050005 20000D5D
	v_mul_f32_e64 v6, -v94, s6                                 // 00000000770C: D1050006 20000D5E
	v_mul_f32_e64 v7, -v95, s6                                 // 000000007714: D1050007 20000D5F
	v_exp_f32_e32 v4, v4                                       // 00000000771C: 7E084104
	v_exp_f32_e32 v5, v5                                       // 000000007720: 7E0A4105
	v_exp_f32_e32 v6, v6                                       // 000000007724: 7E0C4106
	v_exp_f32_e32 v7, v7                                       // 000000007728: 7E0E4107
	v_add_f32_e64 v4, v4, 1.0                                  // 00000000772C: D1010004 0001E504
	v_add_f32_e64 v5, v5, 1.0                                  // 000000007734: D1010005 0001E505
	v_add_f32_e64 v6, v6, 1.0                                  // 00000000773C: D1010006 0001E506
	v_add_f32_e64 v7, v7, 1.0                                  // 000000007744: D1010007 0001E507
	v_rcp_f32_e32 v4, v4                                       // 00000000774C: 7E084504
	v_rcp_f32_e32 v5, v5                                       // 000000007750: 7E0A4505
	v_rcp_f32_e32 v6, v6                                       // 000000007754: 7E0C4506
	v_rcp_f32_e32 v7, v7                                       // 000000007758: 7E0E4507
	v_mul_f32_e32 v92, v92, v4                                 // 00000000775C: 0AB8095C
	v_mul_f32_e32 v93, v93, v5                                 // 000000007760: 0ABA0B5D
	v_mul_f32_e32 v94, v94, v6                                 // 000000007764: 0ABC0D5E
	v_mul_f32_e32 v95, v95, v7                                 // 000000007768: 0ABE0F5F
	v_mul_f32_e32 v92, v92, v172                               // 00000000776C: 0AB9595C
	v_mul_f32_e32 v93, v93, v173                               // 000000007770: 0ABB5B5D
	v_mul_f32_e32 v94, v94, v174                               // 000000007774: 0ABD5D5E
	v_mul_f32_e32 v95, v95, v175                               // 000000007778: 0ABF5F5F
	v_mul_f32_e64 v4, -v96, s6                                 // 00000000777C: D1050004 20000D60
	v_mul_f32_e64 v5, -v97, s6                                 // 000000007784: D1050005 20000D61
	v_mul_f32_e64 v6, -v98, s6                                 // 00000000778C: D1050006 20000D62
	v_mul_f32_e64 v7, -v99, s6                                 // 000000007794: D1050007 20000D63
	v_exp_f32_e32 v4, v4                                       // 00000000779C: 7E084104
	v_exp_f32_e32 v5, v5                                       // 0000000077A0: 7E0A4105
	v_exp_f32_e32 v6, v6                                       // 0000000077A4: 7E0C4106
	v_exp_f32_e32 v7, v7                                       // 0000000077A8: 7E0E4107
	v_add_f32_e64 v4, v4, 1.0                                  // 0000000077AC: D1010004 0001E504
	v_add_f32_e64 v5, v5, 1.0                                  // 0000000077B4: D1010005 0001E505
	v_add_f32_e64 v6, v6, 1.0                                  // 0000000077BC: D1010006 0001E506
	v_add_f32_e64 v7, v7, 1.0                                  // 0000000077C4: D1010007 0001E507
	v_rcp_f32_e32 v4, v4                                       // 0000000077CC: 7E084504
	v_rcp_f32_e32 v5, v5                                       // 0000000077D0: 7E0A4505
	v_rcp_f32_e32 v6, v6                                       // 0000000077D4: 7E0C4506
	v_rcp_f32_e32 v7, v7                                       // 0000000077D8: 7E0E4507
	v_mul_f32_e32 v96, v96, v4                                 // 0000000077DC: 0AC00960
	v_mul_f32_e32 v97, v97, v5                                 // 0000000077E0: 0AC20B61
	v_mul_f32_e32 v98, v98, v6                                 // 0000000077E4: 0AC40D62
	v_mul_f32_e32 v99, v99, v7                                 // 0000000077E8: 0AC60F63
	v_mul_f32_e32 v96, v96, v176                               // 0000000077EC: 0AC16160
	v_mul_f32_e32 v97, v97, v177                               // 0000000077F0: 0AC36361
	v_mul_f32_e32 v98, v98, v178                               // 0000000077F4: 0AC56562
	v_mul_f32_e32 v99, v99, v179                               // 0000000077F8: 0AC76763
	v_mul_f32_e64 v4, -v100, s6                                // 0000000077FC: D1050004 20000D64
	v_mul_f32_e64 v5, -v101, s6                                // 000000007804: D1050005 20000D65
	v_mul_f32_e64 v6, -v102, s6                                // 00000000780C: D1050006 20000D66
	v_mul_f32_e64 v7, -v103, s6                                // 000000007814: D1050007 20000D67
	v_exp_f32_e32 v4, v4                                       // 00000000781C: 7E084104
	v_exp_f32_e32 v5, v5                                       // 000000007820: 7E0A4105
	v_exp_f32_e32 v6, v6                                       // 000000007824: 7E0C4106
	v_exp_f32_e32 v7, v7                                       // 000000007828: 7E0E4107
	v_add_f32_e64 v4, v4, 1.0                                  // 00000000782C: D1010004 0001E504
	v_add_f32_e64 v5, v5, 1.0                                  // 000000007834: D1010005 0001E505
	v_add_f32_e64 v6, v6, 1.0                                  // 00000000783C: D1010006 0001E506
	v_add_f32_e64 v7, v7, 1.0                                  // 000000007844: D1010007 0001E507
	v_rcp_f32_e32 v4, v4                                       // 00000000784C: 7E084504
	v_rcp_f32_e32 v5, v5                                       // 000000007850: 7E0A4505
	v_rcp_f32_e32 v6, v6                                       // 000000007854: 7E0C4506
	v_rcp_f32_e32 v7, v7                                       // 000000007858: 7E0E4507
	v_mul_f32_e32 v100, v100, v4                               // 00000000785C: 0AC80964
	v_mul_f32_e32 v101, v101, v5                               // 000000007860: 0ACA0B65
	v_mul_f32_e32 v102, v102, v6                               // 000000007864: 0ACC0D66
	v_mul_f32_e32 v103, v103, v7                               // 000000007868: 0ACE0F67
	v_mul_f32_e32 v100, v100, v180                             // 00000000786C: 0AC96964
	v_mul_f32_e32 v101, v101, v181                             // 000000007870: 0ACB6B65
	v_mul_f32_e32 v102, v102, v182                             // 000000007874: 0ACD6D66
	v_mul_f32_e32 v103, v103, v183                             // 000000007878: 0ACF6F67
	v_mul_f32_e64 v4, -v104, s6                                // 00000000787C: D1050004 20000D68
	v_mul_f32_e64 v5, -v105, s6                                // 000000007884: D1050005 20000D69
	v_mul_f32_e64 v6, -v106, s6                                // 00000000788C: D1050006 20000D6A
	v_mul_f32_e64 v7, -v107, s6                                // 000000007894: D1050007 20000D6B
	v_exp_f32_e32 v4, v4                                       // 00000000789C: 7E084104
	v_exp_f32_e32 v5, v5                                       // 0000000078A0: 7E0A4105
	v_exp_f32_e32 v6, v6                                       // 0000000078A4: 7E0C4106
	v_exp_f32_e32 v7, v7                                       // 0000000078A8: 7E0E4107
	v_add_f32_e64 v4, v4, 1.0                                  // 0000000078AC: D1010004 0001E504
	v_add_f32_e64 v5, v5, 1.0                                  // 0000000078B4: D1010005 0001E505
	v_add_f32_e64 v6, v6, 1.0                                  // 0000000078BC: D1010006 0001E506
	v_add_f32_e64 v7, v7, 1.0                                  // 0000000078C4: D1010007 0001E507
	v_rcp_f32_e32 v4, v4                                       // 0000000078CC: 7E084504
	v_rcp_f32_e32 v5, v5                                       // 0000000078D0: 7E0A4505
	v_rcp_f32_e32 v6, v6                                       // 0000000078D4: 7E0C4506
	v_rcp_f32_e32 v7, v7                                       // 0000000078D8: 7E0E4507
	v_mul_f32_e32 v104, v104, v4                               // 0000000078DC: 0AD00968
	v_mul_f32_e32 v105, v105, v5                               // 0000000078E0: 0AD20B69
	v_mul_f32_e32 v106, v106, v6                               // 0000000078E4: 0AD40D6A
	v_mul_f32_e32 v107, v107, v7                               // 0000000078E8: 0AD60F6B
	v_mul_f32_e32 v104, v104, v184                             // 0000000078EC: 0AD17168
	v_mul_f32_e32 v105, v105, v185                             // 0000000078F0: 0AD37369
	v_mul_f32_e32 v106, v106, v186                             // 0000000078F4: 0AD5756A
	v_mul_f32_e32 v107, v107, v187                             // 0000000078F8: 0AD7776B
	v_mul_f32_e64 v4, -v108, s6                                // 0000000078FC: D1050004 20000D6C
	v_mul_f32_e64 v5, -v109, s6                                // 000000007904: D1050005 20000D6D
	v_mul_f32_e64 v6, -v110, s6                                // 00000000790C: D1050006 20000D6E
	v_mul_f32_e64 v7, -v111, s6                                // 000000007914: D1050007 20000D6F
	v_exp_f32_e32 v4, v4                                       // 00000000791C: 7E084104
	v_exp_f32_e32 v5, v5                                       // 000000007920: 7E0A4105
	v_exp_f32_e32 v6, v6                                       // 000000007924: 7E0C4106
	v_exp_f32_e32 v7, v7                                       // 000000007928: 7E0E4107
	v_add_f32_e64 v4, v4, 1.0                                  // 00000000792C: D1010004 0001E504
	v_add_f32_e64 v5, v5, 1.0                                  // 000000007934: D1010005 0001E505
	v_add_f32_e64 v6, v6, 1.0                                  // 00000000793C: D1010006 0001E506
	v_add_f32_e64 v7, v7, 1.0                                  // 000000007944: D1010007 0001E507
	v_rcp_f32_e32 v4, v4                                       // 00000000794C: 7E084504
	v_rcp_f32_e32 v5, v5                                       // 000000007950: 7E0A4505
	v_rcp_f32_e32 v6, v6                                       // 000000007954: 7E0C4506
	v_rcp_f32_e32 v7, v7                                       // 000000007958: 7E0E4507
	v_mul_f32_e32 v108, v108, v4                               // 00000000795C: 0AD8096C
	v_mul_f32_e32 v109, v109, v5                               // 000000007960: 0ADA0B6D
	v_mul_f32_e32 v110, v110, v6                               // 000000007964: 0ADC0D6E
	v_mul_f32_e32 v111, v111, v7                               // 000000007968: 0ADE0F6F
	v_mul_f32_e32 v108, v108, v188                             // 00000000796C: 0AD9796C
	v_mul_f32_e32 v109, v109, v189                             // 000000007970: 0ADB7B6D
	v_mul_f32_e32 v110, v110, v190                             // 000000007974: 0ADD7D6E
	v_mul_f32_e32 v111, v111, v191                             // 000000007978: 0ADF7F6F
	v_mul_f32_e64 v4, -v112, s6                                // 00000000797C: D1050004 20000D70
	v_mul_f32_e64 v5, -v113, s6                                // 000000007984: D1050005 20000D71
	v_mul_f32_e64 v6, -v114, s6                                // 00000000798C: D1050006 20000D72
	v_mul_f32_e64 v7, -v115, s6                                // 000000007994: D1050007 20000D73
	v_exp_f32_e32 v4, v4                                       // 00000000799C: 7E084104
	v_exp_f32_e32 v5, v5                                       // 0000000079A0: 7E0A4105
	v_exp_f32_e32 v6, v6                                       // 0000000079A4: 7E0C4106
	v_exp_f32_e32 v7, v7                                       // 0000000079A8: 7E0E4107
	v_add_f32_e64 v4, v4, 1.0                                  // 0000000079AC: D1010004 0001E504
	v_add_f32_e64 v5, v5, 1.0                                  // 0000000079B4: D1010005 0001E505
	v_add_f32_e64 v6, v6, 1.0                                  // 0000000079BC: D1010006 0001E506
	v_add_f32_e64 v7, v7, 1.0                                  // 0000000079C4: D1010007 0001E507
	v_rcp_f32_e32 v4, v4                                       // 0000000079CC: 7E084504
	v_rcp_f32_e32 v5, v5                                       // 0000000079D0: 7E0A4505
	v_rcp_f32_e32 v6, v6                                       // 0000000079D4: 7E0C4506
	v_rcp_f32_e32 v7, v7                                       // 0000000079D8: 7E0E4507
	v_mul_f32_e32 v112, v112, v4                               // 0000000079DC: 0AE00970
	v_mul_f32_e32 v113, v113, v5                               // 0000000079E0: 0AE20B71
	v_mul_f32_e32 v114, v114, v6                               // 0000000079E4: 0AE40D72
	v_mul_f32_e32 v115, v115, v7                               // 0000000079E8: 0AE60F73
	v_mul_f32_e32 v112, v112, v192                             // 0000000079EC: 0AE18170
	v_mul_f32_e32 v113, v113, v193                             // 0000000079F0: 0AE38371
	v_mul_f32_e32 v114, v114, v194                             // 0000000079F4: 0AE58572
	v_mul_f32_e32 v115, v115, v195                             // 0000000079F8: 0AE78773
	v_mul_f32_e64 v4, -v116, s6                                // 0000000079FC: D1050004 20000D74
	v_mul_f32_e64 v5, -v117, s6                                // 000000007A04: D1050005 20000D75
	v_mul_f32_e64 v6, -v118, s6                                // 000000007A0C: D1050006 20000D76
	v_mul_f32_e64 v7, -v119, s6                                // 000000007A14: D1050007 20000D77
	v_exp_f32_e32 v4, v4                                       // 000000007A1C: 7E084104
	v_exp_f32_e32 v5, v5                                       // 000000007A20: 7E0A4105
	v_exp_f32_e32 v6, v6                                       // 000000007A24: 7E0C4106
	v_exp_f32_e32 v7, v7                                       // 000000007A28: 7E0E4107
	v_add_f32_e64 v4, v4, 1.0                                  // 000000007A2C: D1010004 0001E504
	v_add_f32_e64 v5, v5, 1.0                                  // 000000007A34: D1010005 0001E505
	v_add_f32_e64 v6, v6, 1.0                                  // 000000007A3C: D1010006 0001E506
	v_add_f32_e64 v7, v7, 1.0                                  // 000000007A44: D1010007 0001E507
	v_rcp_f32_e32 v4, v4                                       // 000000007A4C: 7E084504
	v_rcp_f32_e32 v5, v5                                       // 000000007A50: 7E0A4505
	v_rcp_f32_e32 v6, v6                                       // 000000007A54: 7E0C4506
	v_rcp_f32_e32 v7, v7                                       // 000000007A58: 7E0E4507
	v_mul_f32_e32 v116, v116, v4                               // 000000007A5C: 0AE80974
	v_mul_f32_e32 v117, v117, v5                               // 000000007A60: 0AEA0B75
	v_mul_f32_e32 v118, v118, v6                               // 000000007A64: 0AEC0D76
	v_mul_f32_e32 v119, v119, v7                               // 000000007A68: 0AEE0F77
	v_mul_f32_e32 v116, v116, v196                             // 000000007A6C: 0AE98974
	v_mul_f32_e32 v117, v117, v197                             // 000000007A70: 0AEB8B75
	v_mul_f32_e32 v118, v118, v198                             // 000000007A74: 0AED8D76
	v_mul_f32_e32 v119, v119, v199                             // 000000007A78: 0AEF8F77
	v_mul_f32_e64 v4, -v120, s6                                // 000000007A7C: D1050004 20000D78
	v_mul_f32_e64 v5, -v121, s6                                // 000000007A84: D1050005 20000D79
	v_mul_f32_e64 v6, -v122, s6                                // 000000007A8C: D1050006 20000D7A
	v_mul_f32_e64 v7, -v123, s6                                // 000000007A94: D1050007 20000D7B
	v_exp_f32_e32 v4, v4                                       // 000000007A9C: 7E084104
	v_exp_f32_e32 v5, v5                                       // 000000007AA0: 7E0A4105
	v_exp_f32_e32 v6, v6                                       // 000000007AA4: 7E0C4106
	v_exp_f32_e32 v7, v7                                       // 000000007AA8: 7E0E4107
	v_add_f32_e64 v4, v4, 1.0                                  // 000000007AAC: D1010004 0001E504
	v_add_f32_e64 v5, v5, 1.0                                  // 000000007AB4: D1010005 0001E505
	v_add_f32_e64 v6, v6, 1.0                                  // 000000007ABC: D1010006 0001E506
	v_add_f32_e64 v7, v7, 1.0                                  // 000000007AC4: D1010007 0001E507
	v_rcp_f32_e32 v4, v4                                       // 000000007ACC: 7E084504
	v_rcp_f32_e32 v5, v5                                       // 000000007AD0: 7E0A4505
	v_rcp_f32_e32 v6, v6                                       // 000000007AD4: 7E0C4506
	v_rcp_f32_e32 v7, v7                                       // 000000007AD8: 7E0E4507
	v_mul_f32_e32 v120, v120, v4                               // 000000007ADC: 0AF00978
	v_mul_f32_e32 v121, v121, v5                               // 000000007AE0: 0AF20B79
	v_mul_f32_e32 v122, v122, v6                               // 000000007AE4: 0AF40D7A
	v_mul_f32_e32 v123, v123, v7                               // 000000007AE8: 0AF60F7B
	v_mul_f32_e32 v120, v120, v200                             // 000000007AEC: 0AF19178
	v_mul_f32_e32 v121, v121, v201                             // 000000007AF0: 0AF39379
	v_mul_f32_e32 v122, v122, v202                             // 000000007AF4: 0AF5957A
	v_mul_f32_e32 v123, v123, v203                             // 000000007AF8: 0AF7977B
	v_mul_f32_e64 v4, -v124, s6                                // 000000007AFC: D1050004 20000D7C
	v_mul_f32_e64 v5, -v125, s6                                // 000000007B04: D1050005 20000D7D
	v_mul_f32_e64 v6, -v126, s6                                // 000000007B0C: D1050006 20000D7E
	v_mul_f32_e64 v7, -v127, s6                                // 000000007B14: D1050007 20000D7F
	v_exp_f32_e32 v4, v4                                       // 000000007B1C: 7E084104
	v_exp_f32_e32 v5, v5                                       // 000000007B20: 7E0A4105
	v_exp_f32_e32 v6, v6                                       // 000000007B24: 7E0C4106
	v_exp_f32_e32 v7, v7                                       // 000000007B28: 7E0E4107
	v_add_f32_e64 v4, v4, 1.0                                  // 000000007B2C: D1010004 0001E504
	v_add_f32_e64 v5, v5, 1.0                                  // 000000007B34: D1010005 0001E505
	v_add_f32_e64 v6, v6, 1.0                                  // 000000007B3C: D1010006 0001E506
	v_add_f32_e64 v7, v7, 1.0                                  // 000000007B44: D1010007 0001E507
	v_rcp_f32_e32 v4, v4                                       // 000000007B4C: 7E084504
	v_rcp_f32_e32 v5, v5                                       // 000000007B50: 7E0A4505
	v_rcp_f32_e32 v6, v6                                       // 000000007B54: 7E0C4506
	v_rcp_f32_e32 v7, v7                                       // 000000007B58: 7E0E4507
	v_mul_f32_e32 v124, v124, v4                               // 000000007B5C: 0AF8097C
	v_mul_f32_e32 v125, v125, v5                               // 000000007B60: 0AFA0B7D
	v_mul_f32_e32 v126, v126, v6                               // 000000007B64: 0AFC0D7E
	v_mul_f32_e32 v127, v127, v7                               // 000000007B68: 0AFE0F7F
	v_mul_f32_e32 v124, v124, v204                             // 000000007B6C: 0AF9997C
	v_mul_f32_e32 v125, v125, v205                             // 000000007B70: 0AFB9B7D
	v_mul_f32_e32 v126, v126, v206                             // 000000007B74: 0AFD9D7E
	v_mul_f32_e32 v127, v127, v207                             // 000000007B78: 0AFF9F7F
	v_mul_f32_e64 v4, -v128, s6                                // 000000007B7C: D1050004 20000D80
	v_mul_f32_e64 v5, -v129, s6                                // 000000007B84: D1050005 20000D81
	v_mul_f32_e64 v6, -v130, s6                                // 000000007B8C: D1050006 20000D82
	v_mul_f32_e64 v7, -v131, s6                                // 000000007B94: D1050007 20000D83
	v_exp_f32_e32 v4, v4                                       // 000000007B9C: 7E084104
	v_exp_f32_e32 v5, v5                                       // 000000007BA0: 7E0A4105
	v_exp_f32_e32 v6, v6                                       // 000000007BA4: 7E0C4106
	v_exp_f32_e32 v7, v7                                       // 000000007BA8: 7E0E4107
	v_add_f32_e64 v4, v4, 1.0                                  // 000000007BAC: D1010004 0001E504
	v_add_f32_e64 v5, v5, 1.0                                  // 000000007BB4: D1010005 0001E505
	v_add_f32_e64 v6, v6, 1.0                                  // 000000007BBC: D1010006 0001E506
	v_add_f32_e64 v7, v7, 1.0                                  // 000000007BC4: D1010007 0001E507
	v_rcp_f32_e32 v4, v4                                       // 000000007BCC: 7E084504
	v_rcp_f32_e32 v5, v5                                       // 000000007BD0: 7E0A4505
	v_rcp_f32_e32 v6, v6                                       // 000000007BD4: 7E0C4506
	v_rcp_f32_e32 v7, v7                                       // 000000007BD8: 7E0E4507
	v_mul_f32_e32 v128, v128, v4                               // 000000007BDC: 0B000980
	v_mul_f32_e32 v129, v129, v5                               // 000000007BE0: 0B020B81
	v_mul_f32_e32 v130, v130, v6                               // 000000007BE4: 0B040D82
	v_mul_f32_e32 v131, v131, v7                               // 000000007BE8: 0B060F83
	v_mul_f32_e32 v128, v128, v208                             // 000000007BEC: 0B01A180
	v_mul_f32_e32 v129, v129, v209                             // 000000007BF0: 0B03A381
	v_mul_f32_e32 v130, v130, v210                             // 000000007BF4: 0B05A582
	v_mul_f32_e32 v131, v131, v211                             // 000000007BF8: 0B07A783
	v_mul_f32_e64 v4, -v132, s6                                // 000000007BFC: D1050004 20000D84
	v_mul_f32_e64 v5, -v133, s6                                // 000000007C04: D1050005 20000D85
	v_mul_f32_e64 v6, -v134, s6                                // 000000007C0C: D1050006 20000D86
	v_mul_f32_e64 v7, -v135, s6                                // 000000007C14: D1050007 20000D87
	v_exp_f32_e32 v4, v4                                       // 000000007C1C: 7E084104
	v_exp_f32_e32 v5, v5                                       // 000000007C20: 7E0A4105
	v_exp_f32_e32 v6, v6                                       // 000000007C24: 7E0C4106
	v_exp_f32_e32 v7, v7                                       // 000000007C28: 7E0E4107
	v_add_f32_e64 v4, v4, 1.0                                  // 000000007C2C: D1010004 0001E504
	v_add_f32_e64 v5, v5, 1.0                                  // 000000007C34: D1010005 0001E505
	v_add_f32_e64 v6, v6, 1.0                                  // 000000007C3C: D1010006 0001E506
	v_add_f32_e64 v7, v7, 1.0                                  // 000000007C44: D1010007 0001E507
	v_rcp_f32_e32 v4, v4                                       // 000000007C4C: 7E084504
	v_rcp_f32_e32 v5, v5                                       // 000000007C50: 7E0A4505
	v_rcp_f32_e32 v6, v6                                       // 000000007C54: 7E0C4506
	v_rcp_f32_e32 v7, v7                                       // 000000007C58: 7E0E4507
	v_mul_f32_e32 v132, v132, v4                               // 000000007C5C: 0B080984
	v_mul_f32_e32 v133, v133, v5                               // 000000007C60: 0B0A0B85
	v_mul_f32_e32 v134, v134, v6                               // 000000007C64: 0B0C0D86
	v_mul_f32_e32 v135, v135, v7                               // 000000007C68: 0B0E0F87
	v_mul_f32_e32 v132, v132, v212                             // 000000007C6C: 0B09A984
	v_mul_f32_e32 v133, v133, v213                             // 000000007C70: 0B0BAB85
	v_mul_f32_e32 v134, v134, v214                             // 000000007C74: 0B0DAD86
	v_mul_f32_e32 v135, v135, v215                             // 000000007C78: 0B0FAF87
	v_mul_f32_e64 v4, -v136, s6                                // 000000007C7C: D1050004 20000D88
	v_mul_f32_e64 v5, -v137, s6                                // 000000007C84: D1050005 20000D89
	v_mul_f32_e64 v6, -v138, s6                                // 000000007C8C: D1050006 20000D8A
	v_mul_f32_e64 v7, -v139, s6                                // 000000007C94: D1050007 20000D8B
	v_exp_f32_e32 v4, v4                                       // 000000007C9C: 7E084104
	v_exp_f32_e32 v5, v5                                       // 000000007CA0: 7E0A4105
	v_exp_f32_e32 v6, v6                                       // 000000007CA4: 7E0C4106
	v_exp_f32_e32 v7, v7                                       // 000000007CA8: 7E0E4107
	v_add_f32_e64 v4, v4, 1.0                                  // 000000007CAC: D1010004 0001E504
	v_add_f32_e64 v5, v5, 1.0                                  // 000000007CB4: D1010005 0001E505
	v_add_f32_e64 v6, v6, 1.0                                  // 000000007CBC: D1010006 0001E506
	v_add_f32_e64 v7, v7, 1.0                                  // 000000007CC4: D1010007 0001E507
	v_rcp_f32_e32 v4, v4                                       // 000000007CCC: 7E084504
	v_rcp_f32_e32 v5, v5                                       // 000000007CD0: 7E0A4505
	v_rcp_f32_e32 v6, v6                                       // 000000007CD4: 7E0C4506
	v_rcp_f32_e32 v7, v7                                       // 000000007CD8: 7E0E4507
	v_mul_f32_e32 v136, v136, v4                               // 000000007CDC: 0B100988
	v_mul_f32_e32 v137, v137, v5                               // 000000007CE0: 0B120B89
	v_mul_f32_e32 v138, v138, v6                               // 000000007CE4: 0B140D8A
	v_mul_f32_e32 v139, v139, v7                               // 000000007CE8: 0B160F8B
	v_mul_f32_e32 v136, v136, v216                             // 000000007CEC: 0B11B188
	v_mul_f32_e32 v137, v137, v217                             // 000000007CF0: 0B13B389
	v_mul_f32_e32 v138, v138, v218                             // 000000007CF4: 0B15B58A
	v_mul_f32_e32 v139, v139, v219                             // 000000007CF8: 0B17B78B
	v_mul_f32_e64 v4, -v140, s6                                // 000000007CFC: D1050004 20000D8C
	v_mul_f32_e64 v5, -v141, s6                                // 000000007D04: D1050005 20000D8D
	v_mul_f32_e64 v6, -v142, s6                                // 000000007D0C: D1050006 20000D8E
	v_mul_f32_e64 v7, -v143, s6                                // 000000007D14: D1050007 20000D8F
	v_exp_f32_e32 v4, v4                                       // 000000007D1C: 7E084104
	v_exp_f32_e32 v5, v5                                       // 000000007D20: 7E0A4105
	v_exp_f32_e32 v6, v6                                       // 000000007D24: 7E0C4106
	v_exp_f32_e32 v7, v7                                       // 000000007D28: 7E0E4107
	v_add_f32_e64 v4, v4, 1.0                                  // 000000007D2C: D1010004 0001E504
	v_add_f32_e64 v5, v5, 1.0                                  // 000000007D34: D1010005 0001E505
	v_add_f32_e64 v6, v6, 1.0                                  // 000000007D3C: D1010006 0001E506
	v_add_f32_e64 v7, v7, 1.0                                  // 000000007D44: D1010007 0001E507
	v_rcp_f32_e32 v4, v4                                       // 000000007D4C: 7E084504
	v_rcp_f32_e32 v5, v5                                       // 000000007D50: 7E0A4505
	v_rcp_f32_e32 v6, v6                                       // 000000007D54: 7E0C4506
	v_rcp_f32_e32 v7, v7                                       // 000000007D58: 7E0E4507
	v_mul_f32_e32 v140, v140, v4                               // 000000007D5C: 0B18098C
	v_mul_f32_e32 v141, v141, v5                               // 000000007D60: 0B1A0B8D
	v_mul_f32_e32 v142, v142, v6                               // 000000007D64: 0B1C0D8E
	v_mul_f32_e32 v143, v143, v7                               // 000000007D68: 0B1E0F8F
	v_mul_f32_e32 v140, v140, v220                             // 000000007D6C: 0B19B98C
	v_mul_f32_e32 v141, v141, v221                             // 000000007D70: 0B1BBB8D
	v_mul_f32_e32 v142, v142, v222                             // 000000007D74: 0B1DBD8E
	v_mul_f32_e32 v143, v143, v223                             // 000000007D78: 0B1FBF8F

0000000000007d7c <label_14DF>:
	v_cmp_u_f32_e64 s[46:47], v64, v64                         // 000000007D7C: D048002E 00028140
	v_add3_u32 v16, v64, v19, 1                                // 000000007D84: D1FF0010 02062740
	v_cndmask_b32_e64 v4, v16, v18, s[46:47]                   // 000000007D8C: D1000004 00BA2510
	v_cmp_u_f32_e64 s[46:47], v65, v65                         // 000000007D94: D048002E 00028341
	v_add3_u32 v16, v65, v19, 1                                // 000000007D9C: D1FF0010 02062741
	v_cndmask_b32_e64 v5, v16, v18, s[46:47]                   // 000000007DA4: D1000005 00BA2510
	v_perm_b32 v64, v5, v4, s52                                // 000000007DAC: D1ED0040 00D20905
	v_cmp_u_f32_e64 s[46:47], v66, v66                         // 000000007DB4: D048002E 00028542
	v_add3_u32 v16, v66, v19, 1                                // 000000007DBC: D1FF0010 02062742
	v_cndmask_b32_e64 v4, v16, v18, s[46:47]                   // 000000007DC4: D1000004 00BA2510
	v_cmp_u_f32_e64 s[46:47], v67, v67                         // 000000007DCC: D048002E 00028743
	v_add3_u32 v16, v67, v19, 1                                // 000000007DD4: D1FF0010 02062743
	v_cndmask_b32_e64 v5, v16, v18, s[46:47]                   // 000000007DDC: D1000005 00BA2510
	v_perm_b32 v65, v5, v4, s52                                // 000000007DE4: D1ED0041 00D20905
	v_cmp_u_f32_e64 s[46:47], v68, v68                         // 000000007DEC: D048002E 00028944
	v_add3_u32 v16, v68, v19, 1                                // 000000007DF4: D1FF0010 02062744
	v_cndmask_b32_e64 v4, v16, v18, s[46:47]                   // 000000007DFC: D1000004 00BA2510
	v_cmp_u_f32_e64 s[46:47], v69, v69                         // 000000007E04: D048002E 00028B45
	v_add3_u32 v16, v69, v19, 1                                // 000000007E0C: D1FF0010 02062745
	v_cndmask_b32_e64 v5, v16, v18, s[46:47]                   // 000000007E14: D1000005 00BA2510
	v_perm_b32 v66, v5, v4, s52                                // 000000007E1C: D1ED0042 00D20905
	v_cmp_u_f32_e64 s[46:47], v70, v70                         // 000000007E24: D048002E 00028D46
	v_add3_u32 v16, v70, v19, 1                                // 000000007E2C: D1FF0010 02062746
	v_cndmask_b32_e64 v4, v16, v18, s[46:47]                   // 000000007E34: D1000004 00BA2510
	v_cmp_u_f32_e64 s[46:47], v71, v71                         // 000000007E3C: D048002E 00028F47
	v_add3_u32 v16, v71, v19, 1                                // 000000007E44: D1FF0010 02062747
	v_cndmask_b32_e64 v5, v16, v18, s[46:47]                   // 000000007E4C: D1000005 00BA2510
	v_perm_b32 v67, v5, v4, s52                                // 000000007E54: D1ED0043 00D20905
	v_cmp_u_f32_e64 s[46:47], v72, v72                         // 000000007E5C: D048002E 00029148
	v_add3_u32 v16, v72, v19, 1                                // 000000007E64: D1FF0010 02062748
	v_cndmask_b32_e64 v4, v16, v18, s[46:47]                   // 000000007E6C: D1000004 00BA2510
	v_cmp_u_f32_e64 s[46:47], v73, v73                         // 000000007E74: D048002E 00029349
	v_add3_u32 v16, v73, v19, 1                                // 000000007E7C: D1FF0010 02062749
	v_cndmask_b32_e64 v5, v16, v18, s[46:47]                   // 000000007E84: D1000005 00BA2510
	v_perm_b32 v68, v5, v4, s52                                // 000000007E8C: D1ED0044 00D20905
	v_cmp_u_f32_e64 s[46:47], v74, v74                         // 000000007E94: D048002E 0002954A
	v_add3_u32 v16, v74, v19, 1                                // 000000007E9C: D1FF0010 0206274A
	v_cndmask_b32_e64 v4, v16, v18, s[46:47]                   // 000000007EA4: D1000004 00BA2510
	v_cmp_u_f32_e64 s[46:47], v75, v75                         // 000000007EAC: D048002E 0002974B
	v_add3_u32 v16, v75, v19, 1                                // 000000007EB4: D1FF0010 0206274B
	v_cndmask_b32_e64 v5, v16, v18, s[46:47]                   // 000000007EBC: D1000005 00BA2510
	v_perm_b32 v69, v5, v4, s52                                // 000000007EC4: D1ED0045 00D20905
	v_cmp_u_f32_e64 s[46:47], v76, v76                         // 000000007ECC: D048002E 0002994C
	v_add3_u32 v16, v76, v19, 1                                // 000000007ED4: D1FF0010 0206274C
	v_cndmask_b32_e64 v4, v16, v18, s[46:47]                   // 000000007EDC: D1000004 00BA2510
	v_cmp_u_f32_e64 s[46:47], v77, v77                         // 000000007EE4: D048002E 00029B4D
	v_add3_u32 v16, v77, v19, 1                                // 000000007EEC: D1FF0010 0206274D
	v_cndmask_b32_e64 v5, v16, v18, s[46:47]                   // 000000007EF4: D1000005 00BA2510
	v_perm_b32 v70, v5, v4, s52                                // 000000007EFC: D1ED0046 00D20905
	v_cmp_u_f32_e64 s[46:47], v78, v78                         // 000000007F04: D048002E 00029D4E
	v_add3_u32 v16, v78, v19, 1                                // 000000007F0C: D1FF0010 0206274E
	v_cndmask_b32_e64 v4, v16, v18, s[46:47]                   // 000000007F14: D1000004 00BA2510
	v_cmp_u_f32_e64 s[46:47], v79, v79                         // 000000007F1C: D048002E 00029F4F
	v_add3_u32 v16, v79, v19, 1                                // 000000007F24: D1FF0010 0206274F
	v_cndmask_b32_e64 v5, v16, v18, s[46:47]                   // 000000007F2C: D1000005 00BA2510
	v_perm_b32 v71, v5, v4, s52                                // 000000007F34: D1ED0047 00D20905
	v_cmp_u_f32_e64 s[46:47], v80, v80                         // 000000007F3C: D048002E 0002A150
	v_add3_u32 v16, v80, v19, 1                                // 000000007F44: D1FF0010 02062750
	v_cndmask_b32_e64 v4, v16, v18, s[46:47]                   // 000000007F4C: D1000004 00BA2510
	v_cmp_u_f32_e64 s[46:47], v81, v81                         // 000000007F54: D048002E 0002A351
	v_add3_u32 v16, v81, v19, 1                                // 000000007F5C: D1FF0010 02062751
	v_cndmask_b32_e64 v5, v16, v18, s[46:47]                   // 000000007F64: D1000005 00BA2510
	v_perm_b32 v72, v5, v4, s52                                // 000000007F6C: D1ED0048 00D20905
	v_cmp_u_f32_e64 s[46:47], v82, v82                         // 000000007F74: D048002E 0002A552
	v_add3_u32 v16, v82, v19, 1                                // 000000007F7C: D1FF0010 02062752
	v_cndmask_b32_e64 v4, v16, v18, s[46:47]                   // 000000007F84: D1000004 00BA2510
	v_cmp_u_f32_e64 s[46:47], v83, v83                         // 000000007F8C: D048002E 0002A753
	v_add3_u32 v16, v83, v19, 1                                // 000000007F94: D1FF0010 02062753
	v_cndmask_b32_e64 v5, v16, v18, s[46:47]                   // 000000007F9C: D1000005 00BA2510
	v_perm_b32 v73, v5, v4, s52                                // 000000007FA4: D1ED0049 00D20905
	v_cmp_u_f32_e64 s[46:47], v84, v84                         // 000000007FAC: D048002E 0002A954
	v_add3_u32 v16, v84, v19, 1                                // 000000007FB4: D1FF0010 02062754
	v_cndmask_b32_e64 v4, v16, v18, s[46:47]                   // 000000007FBC: D1000004 00BA2510
	v_cmp_u_f32_e64 s[46:47], v85, v85                         // 000000007FC4: D048002E 0002AB55
	v_add3_u32 v16, v85, v19, 1                                // 000000007FCC: D1FF0010 02062755
	v_cndmask_b32_e64 v5, v16, v18, s[46:47]                   // 000000007FD4: D1000005 00BA2510
	v_perm_b32 v74, v5, v4, s52                                // 000000007FDC: D1ED004A 00D20905
	v_cmp_u_f32_e64 s[46:47], v86, v86                         // 000000007FE4: D048002E 0002AD56
	v_add3_u32 v16, v86, v19, 1                                // 000000007FEC: D1FF0010 02062756
	v_cndmask_b32_e64 v4, v16, v18, s[46:47]                   // 000000007FF4: D1000004 00BA2510
	v_cmp_u_f32_e64 s[46:47], v87, v87                         // 000000007FFC: D048002E 0002AF57
	v_add3_u32 v16, v87, v19, 1                                // 000000008004: D1FF0010 02062757
	v_cndmask_b32_e64 v5, v16, v18, s[46:47]                   // 00000000800C: D1000005 00BA2510
	v_perm_b32 v75, v5, v4, s52                                // 000000008014: D1ED004B 00D20905
	v_cmp_u_f32_e64 s[46:47], v88, v88                         // 00000000801C: D048002E 0002B158
	v_add3_u32 v16, v88, v19, 1                                // 000000008024: D1FF0010 02062758
	v_cndmask_b32_e64 v4, v16, v18, s[46:47]                   // 00000000802C: D1000004 00BA2510
	v_cmp_u_f32_e64 s[46:47], v89, v89                         // 000000008034: D048002E 0002B359
	v_add3_u32 v16, v89, v19, 1                                // 00000000803C: D1FF0010 02062759
	v_cndmask_b32_e64 v5, v16, v18, s[46:47]                   // 000000008044: D1000005 00BA2510
	v_perm_b32 v76, v5, v4, s52                                // 00000000804C: D1ED004C 00D20905
	v_cmp_u_f32_e64 s[46:47], v90, v90                         // 000000008054: D048002E 0002B55A
	v_add3_u32 v16, v90, v19, 1                                // 00000000805C: D1FF0010 0206275A
	v_cndmask_b32_e64 v4, v16, v18, s[46:47]                   // 000000008064: D1000004 00BA2510
	v_cmp_u_f32_e64 s[46:47], v91, v91                         // 00000000806C: D048002E 0002B75B
	v_add3_u32 v16, v91, v19, 1                                // 000000008074: D1FF0010 0206275B
	v_cndmask_b32_e64 v5, v16, v18, s[46:47]                   // 00000000807C: D1000005 00BA2510
	v_perm_b32 v77, v5, v4, s52                                // 000000008084: D1ED004D 00D20905
	v_cmp_u_f32_e64 s[46:47], v92, v92                         // 00000000808C: D048002E 0002B95C
	v_add3_u32 v16, v92, v19, 1                                // 000000008094: D1FF0010 0206275C
	v_cndmask_b32_e64 v4, v16, v18, s[46:47]                   // 00000000809C: D1000004 00BA2510
	v_cmp_u_f32_e64 s[46:47], v93, v93                         // 0000000080A4: D048002E 0002BB5D
	v_add3_u32 v16, v93, v19, 1                                // 0000000080AC: D1FF0010 0206275D
	v_cndmask_b32_e64 v5, v16, v18, s[46:47]                   // 0000000080B4: D1000005 00BA2510
	v_perm_b32 v78, v5, v4, s52                                // 0000000080BC: D1ED004E 00D20905
	v_cmp_u_f32_e64 s[46:47], v94, v94                         // 0000000080C4: D048002E 0002BD5E
	v_add3_u32 v16, v94, v19, 1                                // 0000000080CC: D1FF0010 0206275E
	v_cndmask_b32_e64 v4, v16, v18, s[46:47]                   // 0000000080D4: D1000004 00BA2510
	v_cmp_u_f32_e64 s[46:47], v95, v95                         // 0000000080DC: D048002E 0002BF5F
	v_add3_u32 v16, v95, v19, 1                                // 0000000080E4: D1FF0010 0206275F
	v_cndmask_b32_e64 v5, v16, v18, s[46:47]                   // 0000000080EC: D1000005 00BA2510
	v_perm_b32 v79, v5, v4, s52                                // 0000000080F4: D1ED004F 00D20905
	v_cmp_u_f32_e64 s[46:47], v96, v96                         // 0000000080FC: D048002E 0002C160
	v_add3_u32 v16, v96, v19, 1                                // 000000008104: D1FF0010 02062760
	v_cndmask_b32_e64 v4, v16, v18, s[46:47]                   // 00000000810C: D1000004 00BA2510
	v_cmp_u_f32_e64 s[46:47], v97, v97                         // 000000008114: D048002E 0002C361
	v_add3_u32 v16, v97, v19, 1                                // 00000000811C: D1FF0010 02062761
	v_cndmask_b32_e64 v5, v16, v18, s[46:47]                   // 000000008124: D1000005 00BA2510
	v_perm_b32 v80, v5, v4, s52                                // 00000000812C: D1ED0050 00D20905
	v_cmp_u_f32_e64 s[46:47], v98, v98                         // 000000008134: D048002E 0002C562
	v_add3_u32 v16, v98, v19, 1                                // 00000000813C: D1FF0010 02062762
	v_cndmask_b32_e64 v4, v16, v18, s[46:47]                   // 000000008144: D1000004 00BA2510
	v_cmp_u_f32_e64 s[46:47], v99, v99                         // 00000000814C: D048002E 0002C763
	v_add3_u32 v16, v99, v19, 1                                // 000000008154: D1FF0010 02062763
	v_cndmask_b32_e64 v5, v16, v18, s[46:47]                   // 00000000815C: D1000005 00BA2510
	v_perm_b32 v81, v5, v4, s52                                // 000000008164: D1ED0051 00D20905
	v_cmp_u_f32_e64 s[46:47], v100, v100                       // 00000000816C: D048002E 0002C964
	v_add3_u32 v16, v100, v19, 1                               // 000000008174: D1FF0010 02062764
	v_cndmask_b32_e64 v4, v16, v18, s[46:47]                   // 00000000817C: D1000004 00BA2510
	v_cmp_u_f32_e64 s[46:47], v101, v101                       // 000000008184: D048002E 0002CB65
	v_add3_u32 v16, v101, v19, 1                               // 00000000818C: D1FF0010 02062765
	v_cndmask_b32_e64 v5, v16, v18, s[46:47]                   // 000000008194: D1000005 00BA2510
	v_perm_b32 v82, v5, v4, s52                                // 00000000819C: D1ED0052 00D20905
	v_cmp_u_f32_e64 s[46:47], v102, v102                       // 0000000081A4: D048002E 0002CD66
	v_add3_u32 v16, v102, v19, 1                               // 0000000081AC: D1FF0010 02062766
	v_cndmask_b32_e64 v4, v16, v18, s[46:47]                   // 0000000081B4: D1000004 00BA2510
	v_cmp_u_f32_e64 s[46:47], v103, v103                       // 0000000081BC: D048002E 0002CF67
	v_add3_u32 v16, v103, v19, 1                               // 0000000081C4: D1FF0010 02062767
	v_cndmask_b32_e64 v5, v16, v18, s[46:47]                   // 0000000081CC: D1000005 00BA2510
	v_perm_b32 v83, v5, v4, s52                                // 0000000081D4: D1ED0053 00D20905
	v_cmp_u_f32_e64 s[46:47], v104, v104                       // 0000000081DC: D048002E 0002D168
	v_add3_u32 v16, v104, v19, 1                               // 0000000081E4: D1FF0010 02062768
	v_cndmask_b32_e64 v4, v16, v18, s[46:47]                   // 0000000081EC: D1000004 00BA2510
	v_cmp_u_f32_e64 s[46:47], v105, v105                       // 0000000081F4: D048002E 0002D369
	v_add3_u32 v16, v105, v19, 1                               // 0000000081FC: D1FF0010 02062769
	v_cndmask_b32_e64 v5, v16, v18, s[46:47]                   // 000000008204: D1000005 00BA2510
	v_perm_b32 v84, v5, v4, s52                                // 00000000820C: D1ED0054 00D20905
	v_cmp_u_f32_e64 s[46:47], v106, v106                       // 000000008214: D048002E 0002D56A
	v_add3_u32 v16, v106, v19, 1                               // 00000000821C: D1FF0010 0206276A
	v_cndmask_b32_e64 v4, v16, v18, s[46:47]                   // 000000008224: D1000004 00BA2510
	v_cmp_u_f32_e64 s[46:47], v107, v107                       // 00000000822C: D048002E 0002D76B
	v_add3_u32 v16, v107, v19, 1                               // 000000008234: D1FF0010 0206276B
	v_cndmask_b32_e64 v5, v16, v18, s[46:47]                   // 00000000823C: D1000005 00BA2510
	v_perm_b32 v85, v5, v4, s52                                // 000000008244: D1ED0055 00D20905
	v_cmp_u_f32_e64 s[46:47], v108, v108                       // 00000000824C: D048002E 0002D96C
	v_add3_u32 v16, v108, v19, 1                               // 000000008254: D1FF0010 0206276C
	v_cndmask_b32_e64 v4, v16, v18, s[46:47]                   // 00000000825C: D1000004 00BA2510
	v_cmp_u_f32_e64 s[46:47], v109, v109                       // 000000008264: D048002E 0002DB6D
	v_add3_u32 v16, v109, v19, 1                               // 00000000826C: D1FF0010 0206276D
	v_cndmask_b32_e64 v5, v16, v18, s[46:47]                   // 000000008274: D1000005 00BA2510
	v_perm_b32 v86, v5, v4, s52                                // 00000000827C: D1ED0056 00D20905
	v_cmp_u_f32_e64 s[46:47], v110, v110                       // 000000008284: D048002E 0002DD6E
	v_add3_u32 v16, v110, v19, 1                               // 00000000828C: D1FF0010 0206276E
	v_cndmask_b32_e64 v4, v16, v18, s[46:47]                   // 000000008294: D1000004 00BA2510
	v_cmp_u_f32_e64 s[46:47], v111, v111                       // 00000000829C: D048002E 0002DF6F
	v_add3_u32 v16, v111, v19, 1                               // 0000000082A4: D1FF0010 0206276F
	v_cndmask_b32_e64 v5, v16, v18, s[46:47]                   // 0000000082AC: D1000005 00BA2510
	v_perm_b32 v87, v5, v4, s52                                // 0000000082B4: D1ED0057 00D20905
	v_cmp_u_f32_e64 s[46:47], v112, v112                       // 0000000082BC: D048002E 0002E170
	v_add3_u32 v16, v112, v19, 1                               // 0000000082C4: D1FF0010 02062770
	v_cndmask_b32_e64 v4, v16, v18, s[46:47]                   // 0000000082CC: D1000004 00BA2510
	v_cmp_u_f32_e64 s[46:47], v113, v113                       // 0000000082D4: D048002E 0002E371
	v_add3_u32 v16, v113, v19, 1                               // 0000000082DC: D1FF0010 02062771
	v_cndmask_b32_e64 v5, v16, v18, s[46:47]                   // 0000000082E4: D1000005 00BA2510
	v_perm_b32 v88, v5, v4, s52                                // 0000000082EC: D1ED0058 00D20905
	v_cmp_u_f32_e64 s[46:47], v114, v114                       // 0000000082F4: D048002E 0002E572
	v_add3_u32 v16, v114, v19, 1                               // 0000000082FC: D1FF0010 02062772
	v_cndmask_b32_e64 v4, v16, v18, s[46:47]                   // 000000008304: D1000004 00BA2510
	v_cmp_u_f32_e64 s[46:47], v115, v115                       // 00000000830C: D048002E 0002E773
	v_add3_u32 v16, v115, v19, 1                               // 000000008314: D1FF0010 02062773
	v_cndmask_b32_e64 v5, v16, v18, s[46:47]                   // 00000000831C: D1000005 00BA2510
	v_perm_b32 v89, v5, v4, s52                                // 000000008324: D1ED0059 00D20905
	v_cmp_u_f32_e64 s[46:47], v116, v116                       // 00000000832C: D048002E 0002E974
	v_add3_u32 v16, v116, v19, 1                               // 000000008334: D1FF0010 02062774
	v_cndmask_b32_e64 v4, v16, v18, s[46:47]                   // 00000000833C: D1000004 00BA2510
	v_cmp_u_f32_e64 s[46:47], v117, v117                       // 000000008344: D048002E 0002EB75
	v_add3_u32 v16, v117, v19, 1                               // 00000000834C: D1FF0010 02062775
	v_cndmask_b32_e64 v5, v16, v18, s[46:47]                   // 000000008354: D1000005 00BA2510
	v_perm_b32 v90, v5, v4, s52                                // 00000000835C: D1ED005A 00D20905
	v_cmp_u_f32_e64 s[46:47], v118, v118                       // 000000008364: D048002E 0002ED76
	v_add3_u32 v16, v118, v19, 1                               // 00000000836C: D1FF0010 02062776
	v_cndmask_b32_e64 v4, v16, v18, s[46:47]                   // 000000008374: D1000004 00BA2510
	v_cmp_u_f32_e64 s[46:47], v119, v119                       // 00000000837C: D048002E 0002EF77
	v_add3_u32 v16, v119, v19, 1                               // 000000008384: D1FF0010 02062777
	v_cndmask_b32_e64 v5, v16, v18, s[46:47]                   // 00000000838C: D1000005 00BA2510
	v_perm_b32 v91, v5, v4, s52                                // 000000008394: D1ED005B 00D20905
	v_cmp_u_f32_e64 s[46:47], v120, v120                       // 00000000839C: D048002E 0002F178
	v_add3_u32 v16, v120, v19, 1                               // 0000000083A4: D1FF0010 02062778
	v_cndmask_b32_e64 v4, v16, v18, s[46:47]                   // 0000000083AC: D1000004 00BA2510
	v_cmp_u_f32_e64 s[46:47], v121, v121                       // 0000000083B4: D048002E 0002F379
	v_add3_u32 v16, v121, v19, 1                               // 0000000083BC: D1FF0010 02062779
	v_cndmask_b32_e64 v5, v16, v18, s[46:47]                   // 0000000083C4: D1000005 00BA2510
	v_perm_b32 v92, v5, v4, s52                                // 0000000083CC: D1ED005C 00D20905
	v_cmp_u_f32_e64 s[46:47], v122, v122                       // 0000000083D4: D048002E 0002F57A
	v_add3_u32 v16, v122, v19, 1                               // 0000000083DC: D1FF0010 0206277A
	v_cndmask_b32_e64 v4, v16, v18, s[46:47]                   // 0000000083E4: D1000004 00BA2510
	v_cmp_u_f32_e64 s[46:47], v123, v123                       // 0000000083EC: D048002E 0002F77B
	v_add3_u32 v16, v123, v19, 1                               // 0000000083F4: D1FF0010 0206277B
	v_cndmask_b32_e64 v5, v16, v18, s[46:47]                   // 0000000083FC: D1000005 00BA2510
	v_perm_b32 v93, v5, v4, s52                                // 000000008404: D1ED005D 00D20905
	v_cmp_u_f32_e64 s[46:47], v124, v124                       // 00000000840C: D048002E 0002F97C
	v_add3_u32 v16, v124, v19, 1                               // 000000008414: D1FF0010 0206277C
	v_cndmask_b32_e64 v4, v16, v18, s[46:47]                   // 00000000841C: D1000004 00BA2510
	v_cmp_u_f32_e64 s[46:47], v125, v125                       // 000000008424: D048002E 0002FB7D
	v_add3_u32 v16, v125, v19, 1                               // 00000000842C: D1FF0010 0206277D
	v_cndmask_b32_e64 v5, v16, v18, s[46:47]                   // 000000008434: D1000005 00BA2510
	v_perm_b32 v94, v5, v4, s52                                // 00000000843C: D1ED005E 00D20905
	v_cmp_u_f32_e64 s[46:47], v126, v126                       // 000000008444: D048002E 0002FD7E
	v_add3_u32 v16, v126, v19, 1                               // 00000000844C: D1FF0010 0206277E
	v_cndmask_b32_e64 v4, v16, v18, s[46:47]                   // 000000008454: D1000004 00BA2510
	v_cmp_u_f32_e64 s[46:47], v127, v127                       // 00000000845C: D048002E 0002FF7F
	v_add3_u32 v16, v127, v19, 1                               // 000000008464: D1FF0010 0206277F
	v_cndmask_b32_e64 v5, v16, v18, s[46:47]                   // 00000000846C: D1000005 00BA2510
	v_perm_b32 v95, v5, v4, s52                                // 000000008474: D1ED005F 00D20905
	v_cmp_u_f32_e64 s[46:47], v128, v128                       // 00000000847C: D048002E 00030180
	v_add3_u32 v16, v128, v19, 1                               // 000000008484: D1FF0010 02062780
	v_cndmask_b32_e64 v4, v16, v18, s[46:47]                   // 00000000848C: D1000004 00BA2510
	v_cmp_u_f32_e64 s[46:47], v129, v129                       // 000000008494: D048002E 00030381
	v_add3_u32 v16, v129, v19, 1                               // 00000000849C: D1FF0010 02062781
	v_cndmask_b32_e64 v5, v16, v18, s[46:47]                   // 0000000084A4: D1000005 00BA2510
	v_perm_b32 v96, v5, v4, s52                                // 0000000084AC: D1ED0060 00D20905
	v_cmp_u_f32_e64 s[46:47], v130, v130                       // 0000000084B4: D048002E 00030582
	v_add3_u32 v16, v130, v19, 1                               // 0000000084BC: D1FF0010 02062782
	v_cndmask_b32_e64 v4, v16, v18, s[46:47]                   // 0000000084C4: D1000004 00BA2510
	v_cmp_u_f32_e64 s[46:47], v131, v131                       // 0000000084CC: D048002E 00030783
	v_add3_u32 v16, v131, v19, 1                               // 0000000084D4: D1FF0010 02062783
	v_cndmask_b32_e64 v5, v16, v18, s[46:47]                   // 0000000084DC: D1000005 00BA2510
	v_perm_b32 v97, v5, v4, s52                                // 0000000084E4: D1ED0061 00D20905
	v_cmp_u_f32_e64 s[46:47], v132, v132                       // 0000000084EC: D048002E 00030984
	v_add3_u32 v16, v132, v19, 1                               // 0000000084F4: D1FF0010 02062784
	v_cndmask_b32_e64 v4, v16, v18, s[46:47]                   // 0000000084FC: D1000004 00BA2510
	v_cmp_u_f32_e64 s[46:47], v133, v133                       // 000000008504: D048002E 00030B85
	v_add3_u32 v16, v133, v19, 1                               // 00000000850C: D1FF0010 02062785
	v_cndmask_b32_e64 v5, v16, v18, s[46:47]                   // 000000008514: D1000005 00BA2510
	v_perm_b32 v98, v5, v4, s52                                // 00000000851C: D1ED0062 00D20905
	v_cmp_u_f32_e64 s[46:47], v134, v134                       // 000000008524: D048002E 00030D86
	v_add3_u32 v16, v134, v19, 1                               // 00000000852C: D1FF0010 02062786
	v_cndmask_b32_e64 v4, v16, v18, s[46:47]                   // 000000008534: D1000004 00BA2510
	v_cmp_u_f32_e64 s[46:47], v135, v135                       // 00000000853C: D048002E 00030F87
	v_add3_u32 v16, v135, v19, 1                               // 000000008544: D1FF0010 02062787
	v_cndmask_b32_e64 v5, v16, v18, s[46:47]                   // 00000000854C: D1000005 00BA2510
	v_perm_b32 v99, v5, v4, s52                                // 000000008554: D1ED0063 00D20905
	v_cmp_u_f32_e64 s[46:47], v136, v136                       // 00000000855C: D048002E 00031188
	v_add3_u32 v16, v136, v19, 1                               // 000000008564: D1FF0010 02062788
	v_cndmask_b32_e64 v4, v16, v18, s[46:47]                   // 00000000856C: D1000004 00BA2510
	v_cmp_u_f32_e64 s[46:47], v137, v137                       // 000000008574: D048002E 00031389
	v_add3_u32 v16, v137, v19, 1                               // 00000000857C: D1FF0010 02062789
	v_cndmask_b32_e64 v5, v16, v18, s[46:47]                   // 000000008584: D1000005 00BA2510
	v_perm_b32 v100, v5, v4, s52                               // 00000000858C: D1ED0064 00D20905
	v_cmp_u_f32_e64 s[46:47], v138, v138                       // 000000008594: D048002E 0003158A
	v_add3_u32 v16, v138, v19, 1                               // 00000000859C: D1FF0010 0206278A
	v_cndmask_b32_e64 v4, v16, v18, s[46:47]                   // 0000000085A4: D1000004 00BA2510
	v_cmp_u_f32_e64 s[46:47], v139, v139                       // 0000000085AC: D048002E 0003178B
	v_add3_u32 v16, v139, v19, 1                               // 0000000085B4: D1FF0010 0206278B
	v_cndmask_b32_e64 v5, v16, v18, s[46:47]                   // 0000000085BC: D1000005 00BA2510
	v_perm_b32 v101, v5, v4, s52                               // 0000000085C4: D1ED0065 00D20905
	v_cmp_u_f32_e64 s[46:47], v140, v140                       // 0000000085CC: D048002E 0003198C
	v_add3_u32 v16, v140, v19, 1                               // 0000000085D4: D1FF0010 0206278C
	v_cndmask_b32_e64 v4, v16, v18, s[46:47]                   // 0000000085DC: D1000004 00BA2510
	v_cmp_u_f32_e64 s[46:47], v141, v141                       // 0000000085E4: D048002E 00031B8D
	v_add3_u32 v16, v141, v19, 1                               // 0000000085EC: D1FF0010 0206278D
	v_cndmask_b32_e64 v5, v16, v18, s[46:47]                   // 0000000085F4: D1000005 00BA2510
	v_perm_b32 v102, v5, v4, s52                               // 0000000085FC: D1ED0066 00D20905
	v_cmp_u_f32_e64 s[46:47], v142, v142                       // 000000008604: D048002E 00031D8E
	v_add3_u32 v16, v142, v19, 1                               // 00000000860C: D1FF0010 0206278E
	v_cndmask_b32_e64 v4, v16, v18, s[46:47]                   // 000000008614: D1000004 00BA2510
	v_cmp_u_f32_e64 s[46:47], v143, v143                       // 00000000861C: D048002E 00031F8F
	v_add3_u32 v16, v143, v19, 1                               // 000000008624: D1FF0010 0206278F
	v_cndmask_b32_e64 v5, v16, v18, s[46:47]                   // 00000000862C: D1000005 00BA2510
	v_perm_b32 v103, v5, v4, s52                               // 000000008634: D1ED0067 00D20905
	ds_write_b64 v20, v[64:65]                                 // 00000000863C: D89A0000 00004014
	ds_write_b64 v20, v[66:67] offset:8704                     // 000000008644: D89A2200 00004214
	ds_write_b64 v20, v[68:69] offset:17408                    // 00000000864C: D89A4400 00004414
	ds_write_b64 v20, v[70:71] offset:26112                    // 000000008654: D89A6600 00004614
	ds_write_b64 v20, v[72:73] offset:34816                    // 00000000865C: D89A8800 00004814
	ds_write_b64 v20, v[74:75] offset:2176                     // 000000008664: D89A0880 00004A14
	ds_write_b64 v20, v[76:77] offset:10880                    // 00000000866C: D89A2A80 00004C14
	ds_write_b64 v20, v[78:79] offset:19584                    // 000000008674: D89A4C80 00004E14
	ds_write_b64 v20, v[80:81] offset:28288                    // 00000000867C: D89A6E80 00005014
	ds_write_b64 v20, v[82:83] offset:36992                    // 000000008684: D89A9080 00005214
	ds_write_b64 v20, v[84:85] offset:4352                     // 00000000868C: D89A1100 00005414
	ds_write_b64 v20, v[86:87] offset:13056                    // 000000008694: D89A3300 00005614
	ds_write_b64 v20, v[88:89] offset:21760                    // 00000000869C: D89A5500 00005814
	ds_write_b64 v20, v[90:91] offset:30464                    // 0000000086A4: D89A7700 00005A14
	ds_write_b64 v20, v[92:93] offset:39168                    // 0000000086AC: D89A9900 00005C14
	ds_write_b64 v20, v[94:95] offset:6528                     // 0000000086B4: D89A1980 00005E14
	ds_write_b64 v20, v[96:97] offset:15232                    // 0000000086BC: D89A3B80 00006014
	ds_write_b64 v20, v[98:99] offset:23936                    // 0000000086C4: D89A5D80 00006214
	ds_write_b64 v20, v[100:101] offset:32640                  // 0000000086CC: D89A7F80 00006414
	ds_write_b64 v20, v[102:103] offset:41344                  // 0000000086D4: D89AA180 00006614
	v_lshrrev_b32_e32 v4, 5, v0                                // 0000000086DC: 20080085
	v_xor_b32_e32 v5, 1, v4                                    // 0000000086E0: 2A0A0881
	s_mul_i32 s60, s65, 2                                      // 0000000086E4: 923C8241
	s_cmp_eq_u32 s88, 0                                        // 0000000086E8: BF068058
	s_cselect_b32 s61, 1, 4                                    // 0000000086EC: 853D8481
	s_mul_i32 s60, s61, s60                                    // 0000000086F0: 923C3C3D
	v_readlane_b32 s82, v3, 0                                  // 0000000086F4: D2890052 00010103
	s_lshr_b32 s61, s82, 24                                    // 0000000086FC: 8F3D9852
	s_and_b32 s82, s82, 0xffffff                               // 000000008700: 8652FF52 00FFFFFF
	s_mul_i32 s82, s82, s71                                    // 000000008708: 92524752
	s_mul_i32 s61, s60, s61                                    // 00000000870C: 923D3D3C
	s_add_u32 s82, s82, s61                                    // 000000008710: 80523D52
	v_mul_lo_u32 v6, v5, s82                                   // 000000008714: D2850006 0000A505
	v_readlane_b32 s82, v3, 1                                  // 00000000871C: D2890052 00010303
	s_lshr_b32 s61, s82, 24                                    // 000000008724: 8F3D9852
	s_and_b32 s82, s82, 0xffffff                               // 000000008728: 8652FF52 00FFFFFF
	s_mul_i32 s82, s82, s71                                    // 000000008730: 92524752
	s_mul_i32 s61, s60, s61                                    // 000000008734: 923D3D3C
	s_add_u32 s82, s82, s61                                    // 000000008738: 80523D52
	v_mul_lo_u32 v7, v4, s82                                   // 00000000873C: D2850007 0000A504
	v_add_u32_e32 v50, v6, v7                                  // 000000008744: 68640F06
	v_readlane_b32 s82, v3, 2                                  // 000000008748: D2890052 00010503
	s_lshr_b32 s61, s82, 24                                    // 000000008750: 8F3D9852
	s_and_b32 s82, s82, 0xffffff                               // 000000008754: 8652FF52 00FFFFFF
	s_mul_i32 s82, s82, s71                                    // 00000000875C: 92524752
	s_mul_i32 s61, s60, s61                                    // 000000008760: 923D3D3C
	s_add_u32 s82, s82, s61                                    // 000000008764: 80523D52
	v_mul_lo_u32 v6, v5, s82                                   // 000000008768: D2850006 0000A505
	v_readlane_b32 s82, v3, 3                                  // 000000008770: D2890052 00010703
	s_lshr_b32 s61, s82, 24                                    // 000000008778: 8F3D9852
	s_and_b32 s82, s82, 0xffffff                               // 00000000877C: 8652FF52 00FFFFFF
	s_mul_i32 s82, s82, s71                                    // 000000008784: 92524752
	s_mul_i32 s61, s60, s61                                    // 000000008788: 923D3D3C
	s_add_u32 s82, s82, s61                                    // 00000000878C: 80523D52
	v_mul_lo_u32 v7, v4, s82                                   // 000000008790: D2850007 0000A504
	v_add_u32_e32 v51, v6, v7                                  // 000000008798: 68660F06
	v_readlane_b32 s82, v3, 4                                  // 00000000879C: D2890052 00010903
	s_lshr_b32 s61, s82, 24                                    // 0000000087A4: 8F3D9852
	s_and_b32 s82, s82, 0xffffff                               // 0000000087A8: 8652FF52 00FFFFFF
	s_mul_i32 s82, s82, s71                                    // 0000000087B0: 92524752
	s_mul_i32 s61, s60, s61                                    // 0000000087B4: 923D3D3C
	s_add_u32 s82, s82, s61                                    // 0000000087B8: 80523D52
	v_mul_lo_u32 v6, v5, s82                                   // 0000000087BC: D2850006 0000A505
	v_readlane_b32 s82, v3, 5                                  // 0000000087C4: D2890052 00010B03
	s_lshr_b32 s61, s82, 24                                    // 0000000087CC: 8F3D9852
	s_and_b32 s82, s82, 0xffffff                               // 0000000087D0: 8652FF52 00FFFFFF
	s_mul_i32 s82, s82, s71                                    // 0000000087D8: 92524752
	s_mul_i32 s61, s60, s61                                    // 0000000087DC: 923D3D3C
	s_add_u32 s82, s82, s61                                    // 0000000087E0: 80523D52
	v_mul_lo_u32 v7, v4, s82                                   // 0000000087E4: D2850007 0000A504
	v_add_u32_e32 v52, v6, v7                                  // 0000000087EC: 68680F06
	v_readlane_b32 s82, v3, 6                                  // 0000000087F0: D2890052 00010D03
	s_lshr_b32 s61, s82, 24                                    // 0000000087F8: 8F3D9852
	s_and_b32 s82, s82, 0xffffff                               // 0000000087FC: 8652FF52 00FFFFFF
	s_mul_i32 s82, s82, s71                                    // 000000008804: 92524752
	s_mul_i32 s61, s60, s61                                    // 000000008808: 923D3D3C
	s_add_u32 s82, s82, s61                                    // 00000000880C: 80523D52
	v_mul_lo_u32 v6, v5, s82                                   // 000000008810: D2850006 0000A505
	v_readlane_b32 s82, v3, 7                                  // 000000008818: D2890052 00010F03
	s_lshr_b32 s61, s82, 24                                    // 000000008820: 8F3D9852
	s_and_b32 s82, s82, 0xffffff                               // 000000008824: 8652FF52 00FFFFFF
	s_mul_i32 s82, s82, s71                                    // 00000000882C: 92524752
	s_mul_i32 s61, s60, s61                                    // 000000008830: 923D3D3C
	s_add_u32 s82, s82, s61                                    // 000000008834: 80523D52
	v_mul_lo_u32 v7, v4, s82                                   // 000000008838: D2850007 0000A504
	v_add_u32_e32 v53, v6, v7                                  // 000000008840: 686A0F06
	v_readlane_b32 s82, v3, 8                                  // 000000008844: D2890052 00011103
	s_lshr_b32 s61, s82, 24                                    // 00000000884C: 8F3D9852
	s_and_b32 s82, s82, 0xffffff                               // 000000008850: 8652FF52 00FFFFFF
	s_mul_i32 s82, s82, s71                                    // 000000008858: 92524752
	s_mul_i32 s61, s60, s61                                    // 00000000885C: 923D3D3C
	s_add_u32 s82, s82, s61                                    // 000000008860: 80523D52
	v_mul_lo_u32 v6, v5, s82                                   // 000000008864: D2850006 0000A505
	v_readlane_b32 s82, v3, 9                                  // 00000000886C: D2890052 00011303
	s_lshr_b32 s61, s82, 24                                    // 000000008874: 8F3D9852
	s_and_b32 s82, s82, 0xffffff                               // 000000008878: 8652FF52 00FFFFFF
	s_mul_i32 s82, s82, s71                                    // 000000008880: 92524752
	s_mul_i32 s61, s60, s61                                    // 000000008884: 923D3D3C
	s_add_u32 s82, s82, s61                                    // 000000008888: 80523D52
	v_mul_lo_u32 v7, v4, s82                                   // 00000000888C: D2850007 0000A504
	v_add_u32_e32 v54, v6, v7                                  // 000000008894: 686C0F06
	v_readlane_b32 s82, v3, 10                                 // 000000008898: D2890052 00011503
	s_lshr_b32 s61, s82, 24                                    // 0000000088A0: 8F3D9852
	s_and_b32 s82, s82, 0xffffff                               // 0000000088A4: 8652FF52 00FFFFFF
	s_mul_i32 s82, s82, s71                                    // 0000000088AC: 92524752
	s_mul_i32 s61, s60, s61                                    // 0000000088B0: 923D3D3C
	s_add_u32 s82, s82, s61                                    // 0000000088B4: 80523D52
	v_mul_lo_u32 v6, v5, s82                                   // 0000000088B8: D2850006 0000A505
	v_readlane_b32 s82, v3, 11                                 // 0000000088C0: D2890052 00011703
	s_lshr_b32 s61, s82, 24                                    // 0000000088C8: 8F3D9852
	s_and_b32 s82, s82, 0xffffff                               // 0000000088CC: 8652FF52 00FFFFFF
	s_mul_i32 s82, s82, s71                                    // 0000000088D4: 92524752
	s_mul_i32 s61, s60, s61                                    // 0000000088D8: 923D3D3C
	s_add_u32 s82, s82, s61                                    // 0000000088DC: 80523D52
	v_mul_lo_u32 v7, v4, s82                                   // 0000000088E0: D2850007 0000A504
	v_add_u32_e32 v55, v6, v7                                  // 0000000088E8: 686E0F06
	v_readlane_b32 s82, v3, 12                                 // 0000000088EC: D2890052 00011903
	s_lshr_b32 s61, s82, 24                                    // 0000000088F4: 8F3D9852
	s_and_b32 s82, s82, 0xffffff                               // 0000000088F8: 8652FF52 00FFFFFF
	s_mul_i32 s82, s82, s71                                    // 000000008900: 92524752
	s_mul_i32 s61, s60, s61                                    // 000000008904: 923D3D3C
	s_add_u32 s82, s82, s61                                    // 000000008908: 80523D52
	v_mul_lo_u32 v6, v5, s82                                   // 00000000890C: D2850006 0000A505
	v_readlane_b32 s82, v3, 13                                 // 000000008914: D2890052 00011B03
	s_lshr_b32 s61, s82, 24                                    // 00000000891C: 8F3D9852
	s_and_b32 s82, s82, 0xffffff                               // 000000008920: 8652FF52 00FFFFFF
	s_mul_i32 s82, s82, s71                                    // 000000008928: 92524752
	s_mul_i32 s61, s60, s61                                    // 00000000892C: 923D3D3C
	s_add_u32 s82, s82, s61                                    // 000000008930: 80523D52
	v_mul_lo_u32 v7, v4, s82                                   // 000000008934: D2850007 0000A504
	v_add_u32_e32 v56, v6, v7                                  // 00000000893C: 68700F06
	v_readlane_b32 s82, v3, 14                                 // 000000008940: D2890052 00011D03
	s_lshr_b32 s61, s82, 24                                    // 000000008948: 8F3D9852
	s_and_b32 s82, s82, 0xffffff                               // 00000000894C: 8652FF52 00FFFFFF
	s_mul_i32 s82, s82, s71                                    // 000000008954: 92524752
	s_mul_i32 s61, s60, s61                                    // 000000008958: 923D3D3C
	s_add_u32 s82, s82, s61                                    // 00000000895C: 80523D52
	v_mul_lo_u32 v6, v5, s82                                   // 000000008960: D2850006 0000A505
	v_readlane_b32 s82, v3, 15                                 // 000000008968: D2890052 00011F03
	s_lshr_b32 s61, s82, 24                                    // 000000008970: 8F3D9852
	s_and_b32 s82, s82, 0xffffff                               // 000000008974: 8652FF52 00FFFFFF
	s_mul_i32 s82, s82, s71                                    // 00000000897C: 92524752
	s_mul_i32 s61, s60, s61                                    // 000000008980: 923D3D3C
	s_add_u32 s82, s82, s61                                    // 000000008984: 80523D52
	v_mul_lo_u32 v7, v4, s82                                   // 000000008988: D2850007 0000A504
	v_add_u32_e32 v57, v6, v7                                  // 000000008990: 68720F06
	v_readlane_b32 s82, v3, 16                                 // 000000008994: D2890052 00012103
	s_lshr_b32 s61, s82, 24                                    // 00000000899C: 8F3D9852
	s_and_b32 s82, s82, 0xffffff                               // 0000000089A0: 8652FF52 00FFFFFF
	s_mul_i32 s82, s82, s71                                    // 0000000089A8: 92524752
	s_mul_i32 s61, s60, s61                                    // 0000000089AC: 923D3D3C
	s_add_u32 s82, s82, s61                                    // 0000000089B0: 80523D52
	v_mul_lo_u32 v6, v5, s82                                   // 0000000089B4: D2850006 0000A505
	v_readlane_b32 s82, v3, 17                                 // 0000000089BC: D2890052 00012303
	s_lshr_b32 s61, s82, 24                                    // 0000000089C4: 8F3D9852
	s_and_b32 s82, s82, 0xffffff                               // 0000000089C8: 8652FF52 00FFFFFF
	s_mul_i32 s82, s82, s71                                    // 0000000089D0: 92524752
	s_mul_i32 s61, s60, s61                                    // 0000000089D4: 923D3D3C
	s_add_u32 s82, s82, s61                                    // 0000000089D8: 80523D52
	v_mul_lo_u32 v7, v4, s82                                   // 0000000089DC: D2850007 0000A504
	v_add_u32_e32 v58, v6, v7                                  // 0000000089E4: 68740F06
	v_readlane_b32 s82, v3, 18                                 // 0000000089E8: D2890052 00012503
	s_lshr_b32 s61, s82, 24                                    // 0000000089F0: 8F3D9852
	s_and_b32 s82, s82, 0xffffff                               // 0000000089F4: 8652FF52 00FFFFFF
	s_mul_i32 s82, s82, s71                                    // 0000000089FC: 92524752
	s_mul_i32 s61, s60, s61                                    // 000000008A00: 923D3D3C
	s_add_u32 s82, s82, s61                                    // 000000008A04: 80523D52
	v_mul_lo_u32 v6, v5, s82                                   // 000000008A08: D2850006 0000A505
	v_readlane_b32 s82, v3, 19                                 // 000000008A10: D2890052 00012703
	s_lshr_b32 s61, s82, 24                                    // 000000008A18: 8F3D9852
	s_and_b32 s82, s82, 0xffffff                               // 000000008A1C: 8652FF52 00FFFFFF
	s_mul_i32 s82, s82, s71                                    // 000000008A24: 92524752
	s_mul_i32 s61, s60, s61                                    // 000000008A28: 923D3D3C
	s_add_u32 s82, s82, s61                                    // 000000008A2C: 80523D52
	v_mul_lo_u32 v7, v4, s82                                   // 000000008A30: D2850007 0000A504
	v_add_u32_e32 v59, v6, v7                                  // 000000008A38: 68760F06
	v_and_b32_e32 v4, 31, v0                                   // 000000008A3C: 2608009F
	v_lshrrev_b32_e32 v4, 1, v4                                // 000000008A40: 20080881
	s_cmp_eq_u32 s88, 0                                        // 000000008A44: BF068058
	s_cselect_b32 s61, 2, 4                                    // 000000008A48: 853D8482
	v_mul_lo_u32 v4, v4, s61                                   // 000000008A4C: D2850004 00007B04
	v_and_b32_e64 v5, v0, 1                                    // 000000008A54: D1130005 00010300
	v_add_u32_e32 v4, v4, v5                                   // 000000008A5C: 68080B04
	v_lshlrev_b32_e32 v4, 2, v4                                // 000000008A60: 24080882
	v_add_u32_e32 v50, v50, v4                                 // 000000008A64: 68640932
	v_add_u32_e32 v51, v51, v4                                 // 000000008A68: 68660933
	v_add_u32_e32 v52, v52, v4                                 // 000000008A6C: 68680934
	v_add_u32_e32 v53, v53, v4                                 // 000000008A70: 686A0935
	v_add_u32_e32 v54, v54, v4                                 // 000000008A74: 686C0936
	v_add_u32_e32 v55, v55, v4                                 // 000000008A78: 686E0937
	v_add_u32_e32 v56, v56, v4                                 // 000000008A7C: 68700938
	v_add_u32_e32 v57, v57, v4                                 // 000000008A80: 68720939
	v_add_u32_e32 v58, v58, v4                                 // 000000008A84: 6874093A
	v_add_u32_e32 v59, v59, v4                                 // 000000008A88: 6876093B
	s_waitcnt lgkmcnt(0)                                       // 000000008A8C: BF8CC07F
	s_barrier                                                  // 000000008A90: BF8A0000
	ds_read_b32 v64, v21                                       // 000000008A94: D86C0000 40000015
	ds_read_b32 v65, v21 offset:64                             // 000000008A9C: D86C0040 41000015
	ds_read_b32 v66, v21 offset:2176                           // 000000008AA4: D86C0880 42000015
	ds_read_b32 v67, v21 offset:2240                           // 000000008AAC: D86C08C0 43000015
	ds_read_b32 v68, v21 offset:4352                           // 000000008AB4: D86C1100 44000015
	ds_read_b32 v69, v21 offset:4416                           // 000000008ABC: D86C1140 45000015
	ds_read_b32 v70, v21 offset:6528                           // 000000008AC4: D86C1980 46000015
	ds_read_b32 v71, v21 offset:6592                           // 000000008ACC: D86C19C0 47000015
	ds_read_b32 v72, v21 offset:8704                           // 000000008AD4: D86C2200 48000015
	ds_read_b32 v73, v21 offset:8768                           // 000000008ADC: D86C2240 49000015
	ds_read_b32 v74, v21 offset:10880                          // 000000008AE4: D86C2A80 4A000015
	ds_read_b32 v75, v21 offset:10944                          // 000000008AEC: D86C2AC0 4B000015
	ds_read_b32 v76, v21 offset:13056                          // 000000008AF4: D86C3300 4C000015
	ds_read_b32 v77, v21 offset:13120                          // 000000008AFC: D86C3340 4D000015
	ds_read_b32 v78, v21 offset:15232                          // 000000008B04: D86C3B80 4E000015
	ds_read_b32 v79, v21 offset:15296                          // 000000008B0C: D86C3BC0 4F000015
	ds_read_b32 v80, v21 offset:17408                          // 000000008B14: D86C4400 50000015
	ds_read_b32 v81, v21 offset:17472                          // 000000008B1C: D86C4440 51000015
	ds_read_b32 v82, v21 offset:19584                          // 000000008B24: D86C4C80 52000015
	ds_read_b32 v83, v21 offset:19648                          // 000000008B2C: D86C4CC0 53000015
	ds_read_b32 v84, v21 offset:21760                          // 000000008B34: D86C5500 54000015
	ds_read_b32 v85, v21 offset:21824                          // 000000008B3C: D86C5540 55000015
	ds_read_b32 v86, v21 offset:23936                          // 000000008B44: D86C5D80 56000015
	ds_read_b32 v87, v21 offset:24000                          // 000000008B4C: D86C5DC0 57000015
	ds_read_b32 v88, v21 offset:26112                          // 000000008B54: D86C6600 58000015
	ds_read_b32 v89, v21 offset:26176                          // 000000008B5C: D86C6640 59000015
	ds_read_b32 v90, v21 offset:28288                          // 000000008B64: D86C6E80 5A000015
	ds_read_b32 v91, v21 offset:28352                          // 000000008B6C: D86C6EC0 5B000015
	ds_read_b32 v92, v21 offset:30464                          // 000000008B74: D86C7700 5C000015
	ds_read_b32 v93, v21 offset:30528                          // 000000008B7C: D86C7740 5D000015
	ds_read_b32 v94, v21 offset:32640                          // 000000008B84: D86C7F80 5E000015
	ds_read_b32 v95, v21 offset:32704                          // 000000008B8C: D86C7FC0 5F000015
	ds_read_b32 v96, v21 offset:34816                          // 000000008B94: D86C8800 60000015
	ds_read_b32 v97, v21 offset:34880                          // 000000008B9C: D86C8840 61000015
	ds_read_b32 v98, v21 offset:36992                          // 000000008BA4: D86C9080 62000015
	ds_read_b32 v99, v21 offset:37056                          // 000000008BAC: D86C90C0 63000015
	ds_read_b32 v100, v21 offset:39168                         // 000000008BB4: D86C9900 64000015
	ds_read_b32 v101, v21 offset:39232                         // 000000008BBC: D86C9940 65000015
	ds_read_b32 v102, v21 offset:41344                         // 000000008BC4: D86CA180 66000015
	ds_read_b32 v103, v21 offset:41408                         // 000000008BCC: D86CA1C0 67000015
	s_waitcnt lgkmcnt(0)                                       // 000000008BD4: BF8CC07F
	s_mov_b32 s36, -1                                          // 000000008BD8: BEA400C1
	s_mov_b32 s37, -1                                          // 000000008BDC: BEA500C1
	v_mov_b32_e32 v7, 0                                        // 000000008BE0: 7E0E0280
	s_or_b32 s9, s9, 0x40000                                   // 000000008BE4: 8709FF09 00040000
	s_mov_b64 exec, s[36:37]                                   // 000000008BEC: BEFE0124
	v_mov_b32_e32 v6, v50                                      // 000000008BF0: 7E0C0332
	s_mov_b64 s[60:61], 0                                      // 000000008BF4: BEBC0180
	v_readlane_b32 s82, v3, 0                                  // 000000008BF8: D2890052 00010103
	s_and_b32 s82, s82, 0xffffff                               // 000000008C00: 8652FF52 00FFFFFF
	s_cmp_lt_u32 s82, s66                                      // 000000008C08: BF0A4252
	s_cselect_b32 s20, s36, s60                                // 000000008C0C: 85143C24
	v_readlane_b32 s82, v3, 1                                  // 000000008C10: D2890052 00010303
	s_and_b32 s82, s82, 0xffffff                               // 000000008C18: 8652FF52 00FFFFFF
	s_cmp_lt_u32 s82, s66                                      // 000000008C20: BF0A4252
	s_cselect_b32 s21, s36, s60                                // 000000008C24: 85153C24
	s_mov_b64 exec, s[20:21]                                   // 000000008C28: BEFE0114
	buffer_store_dword v64, v6, s[8:11], 0 offen               // 000000008C2C: E0701000 80024006
	buffer_store_dword v66, v6, s[8:11], 0 offen offset:128    // 000000008C34: E0701080 80024206
	buffer_store_dword v68, v6, s[8:11], 0 offen offset:256    // 000000008C3C: E0701100 80024406
	buffer_store_dword v70, v6, s[8:11], 0 offen offset:384    // 000000008C44: E0701180 80024606
	s_mov_b64 exec, s[36:37]                                   // 000000008C4C: BEFE0124
	v_mov_b32_e32 v6, v51                                      // 000000008C50: 7E0C0333
	s_mov_b64 s[60:61], 0                                      // 000000008C54: BEBC0180
	v_readlane_b32 s82, v3, 2                                  // 000000008C58: D2890052 00010503
	s_and_b32 s82, s82, 0xffffff                               // 000000008C60: 8652FF52 00FFFFFF
	s_cmp_lt_u32 s82, s66                                      // 000000008C68: BF0A4252
	s_cselect_b32 s20, s36, s60                                // 000000008C6C: 85143C24
	v_readlane_b32 s82, v3, 3                                  // 000000008C70: D2890052 00010703
	s_and_b32 s82, s82, 0xffffff                               // 000000008C78: 8652FF52 00FFFFFF
	s_cmp_lt_u32 s82, s66                                      // 000000008C80: BF0A4252
	s_cselect_b32 s21, s36, s60                                // 000000008C84: 85153C24
	s_mov_b64 exec, s[20:21]                                   // 000000008C88: BEFE0114
	buffer_store_dword v65, v6, s[8:11], 0 offen               // 000000008C8C: E0701000 80024106
	buffer_store_dword v67, v6, s[8:11], 0 offen offset:128    // 000000008C94: E0701080 80024306
	buffer_store_dword v69, v6, s[8:11], 0 offen offset:256    // 000000008C9C: E0701100 80024506
	buffer_store_dword v71, v6, s[8:11], 0 offen offset:384    // 000000008CA4: E0701180 80024706
	s_mov_b64 exec, s[36:37]                                   // 000000008CAC: BEFE0124
	v_mov_b32_e32 v6, v52                                      // 000000008CB0: 7E0C0334
	s_mov_b64 s[60:61], 0                                      // 000000008CB4: BEBC0180
	v_readlane_b32 s82, v3, 4                                  // 000000008CB8: D2890052 00010903
	s_and_b32 s82, s82, 0xffffff                               // 000000008CC0: 8652FF52 00FFFFFF
	s_cmp_lt_u32 s82, s66                                      // 000000008CC8: BF0A4252
	s_cselect_b32 s20, s36, s60                                // 000000008CCC: 85143C24
	v_readlane_b32 s82, v3, 5                                  // 000000008CD0: D2890052 00010B03
	s_and_b32 s82, s82, 0xffffff                               // 000000008CD8: 8652FF52 00FFFFFF
	s_cmp_lt_u32 s82, s66                                      // 000000008CE0: BF0A4252
	s_cselect_b32 s21, s36, s60                                // 000000008CE4: 85153C24
	s_mov_b64 exec, s[20:21]                                   // 000000008CE8: BEFE0114
	buffer_store_dword v72, v6, s[8:11], 0 offen               // 000000008CEC: E0701000 80024806
	buffer_store_dword v74, v6, s[8:11], 0 offen offset:128    // 000000008CF4: E0701080 80024A06
	buffer_store_dword v76, v6, s[8:11], 0 offen offset:256    // 000000008CFC: E0701100 80024C06
	buffer_store_dword v78, v6, s[8:11], 0 offen offset:384    // 000000008D04: E0701180 80024E06
	s_mov_b64 exec, s[36:37]                                   // 000000008D0C: BEFE0124
	v_mov_b32_e32 v6, v53                                      // 000000008D10: 7E0C0335
	s_mov_b64 s[60:61], 0                                      // 000000008D14: BEBC0180
	v_readlane_b32 s82, v3, 6                                  // 000000008D18: D2890052 00010D03
	s_and_b32 s82, s82, 0xffffff                               // 000000008D20: 8652FF52 00FFFFFF
	s_cmp_lt_u32 s82, s66                                      // 000000008D28: BF0A4252
	s_cselect_b32 s20, s36, s60                                // 000000008D2C: 85143C24
	v_readlane_b32 s82, v3, 7                                  // 000000008D30: D2890052 00010F03
	s_and_b32 s82, s82, 0xffffff                               // 000000008D38: 8652FF52 00FFFFFF
	s_cmp_lt_u32 s82, s66                                      // 000000008D40: BF0A4252
	s_cselect_b32 s21, s36, s60                                // 000000008D44: 85153C24
	s_mov_b64 exec, s[20:21]                                   // 000000008D48: BEFE0114
	buffer_store_dword v73, v6, s[8:11], 0 offen               // 000000008D4C: E0701000 80024906
	buffer_store_dword v75, v6, s[8:11], 0 offen offset:128    // 000000008D54: E0701080 80024B06
	buffer_store_dword v77, v6, s[8:11], 0 offen offset:256    // 000000008D5C: E0701100 80024D06
	buffer_store_dword v79, v6, s[8:11], 0 offen offset:384    // 000000008D64: E0701180 80024F06
	s_mov_b64 exec, s[36:37]                                   // 000000008D6C: BEFE0124
	v_mov_b32_e32 v6, v54                                      // 000000008D70: 7E0C0336
	s_mov_b64 s[60:61], 0                                      // 000000008D74: BEBC0180
	v_readlane_b32 s82, v3, 8                                  // 000000008D78: D2890052 00011103
	s_and_b32 s82, s82, 0xffffff                               // 000000008D80: 8652FF52 00FFFFFF
	s_cmp_lt_u32 s82, s66                                      // 000000008D88: BF0A4252
	s_cselect_b32 s20, s36, s60                                // 000000008D8C: 85143C24
	v_readlane_b32 s82, v3, 9                                  // 000000008D90: D2890052 00011303
	s_and_b32 s82, s82, 0xffffff                               // 000000008D98: 8652FF52 00FFFFFF
	s_cmp_lt_u32 s82, s66                                      // 000000008DA0: BF0A4252
	s_cselect_b32 s21, s36, s60                                // 000000008DA4: 85153C24
	s_mov_b64 exec, s[20:21]                                   // 000000008DA8: BEFE0114
	buffer_store_dword v80, v6, s[8:11], 0 offen               // 000000008DAC: E0701000 80025006
	buffer_store_dword v82, v6, s[8:11], 0 offen offset:128    // 000000008DB4: E0701080 80025206
	buffer_store_dword v84, v6, s[8:11], 0 offen offset:256    // 000000008DBC: E0701100 80025406
	buffer_store_dword v86, v6, s[8:11], 0 offen offset:384    // 000000008DC4: E0701180 80025606
	s_mov_b64 exec, s[36:37]                                   // 000000008DCC: BEFE0124
	v_mov_b32_e32 v6, v55                                      // 000000008DD0: 7E0C0337
	s_mov_b64 s[60:61], 0                                      // 000000008DD4: BEBC0180
	v_readlane_b32 s82, v3, 10                                 // 000000008DD8: D2890052 00011503
	s_and_b32 s82, s82, 0xffffff                               // 000000008DE0: 8652FF52 00FFFFFF
	s_cmp_lt_u32 s82, s66                                      // 000000008DE8: BF0A4252
	s_cselect_b32 s20, s36, s60                                // 000000008DEC: 85143C24
	v_readlane_b32 s82, v3, 11                                 // 000000008DF0: D2890052 00011703
	s_and_b32 s82, s82, 0xffffff                               // 000000008DF8: 8652FF52 00FFFFFF
	s_cmp_lt_u32 s82, s66                                      // 000000008E00: BF0A4252
	s_cselect_b32 s21, s36, s60                                // 000000008E04: 85153C24
	s_mov_b64 exec, s[20:21]                                   // 000000008E08: BEFE0114
	buffer_store_dword v81, v6, s[8:11], 0 offen               // 000000008E0C: E0701000 80025106
	buffer_store_dword v83, v6, s[8:11], 0 offen offset:128    // 000000008E14: E0701080 80025306
	buffer_store_dword v85, v6, s[8:11], 0 offen offset:256    // 000000008E1C: E0701100 80025506
	buffer_store_dword v87, v6, s[8:11], 0 offen offset:384    // 000000008E24: E0701180 80025706
	s_mov_b64 exec, s[36:37]                                   // 000000008E2C: BEFE0124
	v_mov_b32_e32 v6, v56                                      // 000000008E30: 7E0C0338
	s_mov_b64 s[60:61], 0                                      // 000000008E34: BEBC0180
	v_readlane_b32 s82, v3, 12                                 // 000000008E38: D2890052 00011903
	s_and_b32 s82, s82, 0xffffff                               // 000000008E40: 8652FF52 00FFFFFF
	s_cmp_lt_u32 s82, s66                                      // 000000008E48: BF0A4252
	s_cselect_b32 s20, s36, s60                                // 000000008E4C: 85143C24
	v_readlane_b32 s82, v3, 13                                 // 000000008E50: D2890052 00011B03
	s_and_b32 s82, s82, 0xffffff                               // 000000008E58: 8652FF52 00FFFFFF
	s_cmp_lt_u32 s82, s66                                      // 000000008E60: BF0A4252
	s_cselect_b32 s21, s36, s60                                // 000000008E64: 85153C24
	s_mov_b64 exec, s[20:21]                                   // 000000008E68: BEFE0114
	buffer_store_dword v88, v6, s[8:11], 0 offen               // 000000008E6C: E0701000 80025806
	buffer_store_dword v90, v6, s[8:11], 0 offen offset:128    // 000000008E74: E0701080 80025A06
	buffer_store_dword v92, v6, s[8:11], 0 offen offset:256    // 000000008E7C: E0701100 80025C06
	buffer_store_dword v94, v6, s[8:11], 0 offen offset:384    // 000000008E84: E0701180 80025E06
	s_mov_b64 exec, s[36:37]                                   // 000000008E8C: BEFE0124
	v_mov_b32_e32 v6, v57                                      // 000000008E90: 7E0C0339
	s_mov_b64 s[60:61], 0                                      // 000000008E94: BEBC0180
	v_readlane_b32 s82, v3, 14                                 // 000000008E98: D2890052 00011D03
	s_and_b32 s82, s82, 0xffffff                               // 000000008EA0: 8652FF52 00FFFFFF
	s_cmp_lt_u32 s82, s66                                      // 000000008EA8: BF0A4252
	s_cselect_b32 s20, s36, s60                                // 000000008EAC: 85143C24
	v_readlane_b32 s82, v3, 15                                 // 000000008EB0: D2890052 00011F03
	s_and_b32 s82, s82, 0xffffff                               // 000000008EB8: 8652FF52 00FFFFFF
	s_cmp_lt_u32 s82, s66                                      // 000000008EC0: BF0A4252
	s_cselect_b32 s21, s36, s60                                // 000000008EC4: 85153C24
	s_mov_b64 exec, s[20:21]                                   // 000000008EC8: BEFE0114
	buffer_store_dword v89, v6, s[8:11], 0 offen               // 000000008ECC: E0701000 80025906
	buffer_store_dword v91, v6, s[8:11], 0 offen offset:128    // 000000008ED4: E0701080 80025B06
	buffer_store_dword v93, v6, s[8:11], 0 offen offset:256    // 000000008EDC: E0701100 80025D06
	buffer_store_dword v95, v6, s[8:11], 0 offen offset:384    // 000000008EE4: E0701180 80025F06
	s_mov_b64 exec, s[36:37]                                   // 000000008EEC: BEFE0124
	v_mov_b32_e32 v6, v58                                      // 000000008EF0: 7E0C033A
	s_mov_b64 s[60:61], 0                                      // 000000008EF4: BEBC0180
	v_readlane_b32 s82, v3, 16                                 // 000000008EF8: D2890052 00012103
	s_and_b32 s82, s82, 0xffffff                               // 000000008F00: 8652FF52 00FFFFFF
	s_cmp_lt_u32 s82, s66                                      // 000000008F08: BF0A4252
	s_cselect_b32 s20, s36, s60                                // 000000008F0C: 85143C24
	v_readlane_b32 s82, v3, 17                                 // 000000008F10: D2890052 00012303
	s_and_b32 s82, s82, 0xffffff                               // 000000008F18: 8652FF52 00FFFFFF
	s_cmp_lt_u32 s82, s66                                      // 000000008F20: BF0A4252
	s_cselect_b32 s21, s36, s60                                // 000000008F24: 85153C24
	s_mov_b64 exec, s[20:21]                                   // 000000008F28: BEFE0114
	buffer_store_dword v96, v6, s[8:11], 0 offen               // 000000008F2C: E0701000 80026006
	buffer_store_dword v98, v6, s[8:11], 0 offen offset:128    // 000000008F34: E0701080 80026206
	buffer_store_dword v100, v6, s[8:11], 0 offen offset:256   // 000000008F3C: E0701100 80026406
	buffer_store_dword v102, v6, s[8:11], 0 offen offset:384   // 000000008F44: E0701180 80026606
	s_mov_b64 exec, s[36:37]                                   // 000000008F4C: BEFE0124
	v_mov_b32_e32 v6, v59                                      // 000000008F50: 7E0C033B
	s_mov_b64 s[60:61], 0                                      // 000000008F54: BEBC0180
	v_readlane_b32 s82, v3, 18                                 // 000000008F58: D2890052 00012503
	s_and_b32 s82, s82, 0xffffff                               // 000000008F60: 8652FF52 00FFFFFF
	s_cmp_lt_u32 s82, s66                                      // 000000008F68: BF0A4252
	s_cselect_b32 s20, s36, s60                                // 000000008F6C: 85143C24
	v_readlane_b32 s82, v3, 19                                 // 000000008F70: D2890052 00012703
	s_and_b32 s82, s82, 0xffffff                               // 000000008F78: 8652FF52 00FFFFFF
	s_cmp_lt_u32 s82, s66                                      // 000000008F80: BF0A4252
	s_cselect_b32 s21, s36, s60                                // 000000008F84: 85153C24
	s_mov_b64 exec, s[20:21]                                   // 000000008F88: BEFE0114
	buffer_store_dword v97, v6, s[8:11], 0 offen               // 000000008F8C: E0701000 80026106
	buffer_store_dword v99, v6, s[8:11], 0 offen offset:128    // 000000008F94: E0701080 80026306
	buffer_store_dword v101, v6, s[8:11], 0 offen offset:256   // 000000008F9C: E0701100 80026506
	buffer_store_dword v103, v6, s[8:11], 0 offen offset:384   // 000000008FA4: E0701180 80026706
	s_mov_b64 exec, s[36:37]                                   // 000000008FAC: BEFE0124
	s_branch label_3D10                                        // 000000008FB0: BF8223A0

0000000000008fb4 <label_196D>:
	ds_write_b64 v20, v[64:65]                                 // 000000008FB4: D89A0000 00004014
	ds_write_b64 v20, v[68:69] offset:8704                     // 000000008FBC: D89A2200 00004414
	ds_write_b64 v20, v[72:73] offset:17408                    // 000000008FC4: D89A4400 00004814
	ds_write_b64 v20, v[76:77] offset:26112                    // 000000008FCC: D89A6600 00004C14
	ds_write_b64 v20, v[80:81] offset:34816                    // 000000008FD4: D89A8800 00005014
	ds_write_b64 v20, v[84:85] offset:2176                     // 000000008FDC: D89A0880 00005414
	ds_write_b64 v20, v[88:89] offset:10880                    // 000000008FE4: D89A2A80 00005814
	ds_write_b64 v20, v[92:93] offset:19584                    // 000000008FEC: D89A4C80 00005C14
	ds_write_b64 v20, v[96:97] offset:28288                    // 000000008FF4: D89A6E80 00006014
	ds_write_b64 v20, v[100:101] offset:36992                  // 000000008FFC: D89A9080 00006414
	ds_write_b64 v20, v[104:105] offset:4352                   // 000000009004: D89A1100 00006814
	ds_write_b64 v20, v[108:109] offset:13056                  // 00000000900C: D89A3300 00006C14
	ds_write_b64 v20, v[112:113] offset:21760                  // 000000009014: D89A5500 00007014
	ds_write_b64 v20, v[116:117] offset:30464                  // 00000000901C: D89A7700 00007414
	ds_write_b64 v20, v[120:121] offset:39168                  // 000000009024: D89A9900 00007814
	ds_write_b64 v20, v[124:125] offset:6528                   // 00000000902C: D89A1980 00007C14
	ds_write_b64 v20, v[128:129] offset:15232                  // 000000009034: D89A3B80 00008014
	ds_write_b64 v20, v[132:133] offset:23936                  // 00000000903C: D89A5D80 00008414
	ds_write_b64 v20, v[136:137] offset:32640                  // 000000009044: D89A7F80 00008814
	ds_write_b64 v20, v[140:141] offset:41344                  // 00000000904C: D89AA180 00008C14
	v_lshrrev_b32_e32 v4, 5, v0                                // 000000009054: 20080085
	v_xor_b32_e32 v5, 1, v4                                    // 000000009058: 2A0A0881
	s_mul_i32 s60, s65, 2                                      // 00000000905C: 923C8241
	s_cmp_eq_u32 s88, 0                                        // 000000009060: BF068058
	s_cselect_b32 s61, 1, 4                                    // 000000009064: 853D8481
	s_mul_i32 s60, s61, s60                                    // 000000009068: 923C3C3D
	v_readlane_b32 s82, v3, 0                                  // 00000000906C: D2890052 00010103
	s_lshr_b32 s61, s82, 24                                    // 000000009074: 8F3D9852
	s_and_b32 s82, s82, 0xffffff                               // 000000009078: 8652FF52 00FFFFFF
	s_mul_i32 s82, s82, s71                                    // 000000009080: 92524752
	s_mul_i32 s61, s60, s61                                    // 000000009084: 923D3D3C
	s_add_u32 s82, s82, s61                                    // 000000009088: 80523D52
	v_mul_lo_u32 v6, v5, s82                                   // 00000000908C: D2850006 0000A505
	v_readlane_b32 s82, v3, 1                                  // 000000009094: D2890052 00010303
	s_lshr_b32 s61, s82, 24                                    // 00000000909C: 8F3D9852
	s_and_b32 s82, s82, 0xffffff                               // 0000000090A0: 8652FF52 00FFFFFF
	s_mul_i32 s82, s82, s71                                    // 0000000090A8: 92524752
	s_mul_i32 s61, s60, s61                                    // 0000000090AC: 923D3D3C
	s_add_u32 s82, s82, s61                                    // 0000000090B0: 80523D52
	v_mul_lo_u32 v7, v4, s82                                   // 0000000090B4: D2850007 0000A504
	v_add_u32_e32 v50, v6, v7                                  // 0000000090BC: 68640F06
	v_readlane_b32 s82, v3, 2                                  // 0000000090C0: D2890052 00010503
	s_lshr_b32 s61, s82, 24                                    // 0000000090C8: 8F3D9852
	s_and_b32 s82, s82, 0xffffff                               // 0000000090CC: 8652FF52 00FFFFFF
	s_mul_i32 s82, s82, s71                                    // 0000000090D4: 92524752
	s_mul_i32 s61, s60, s61                                    // 0000000090D8: 923D3D3C
	s_add_u32 s82, s82, s61                                    // 0000000090DC: 80523D52
	v_mul_lo_u32 v6, v5, s82                                   // 0000000090E0: D2850006 0000A505
	v_readlane_b32 s82, v3, 3                                  // 0000000090E8: D2890052 00010703
	s_lshr_b32 s61, s82, 24                                    // 0000000090F0: 8F3D9852
	s_and_b32 s82, s82, 0xffffff                               // 0000000090F4: 8652FF52 00FFFFFF
	s_mul_i32 s82, s82, s71                                    // 0000000090FC: 92524752
	s_mul_i32 s61, s60, s61                                    // 000000009100: 923D3D3C
	s_add_u32 s82, s82, s61                                    // 000000009104: 80523D52
	v_mul_lo_u32 v7, v4, s82                                   // 000000009108: D2850007 0000A504
	v_add_u32_e32 v51, v6, v7                                  // 000000009110: 68660F06
	v_readlane_b32 s82, v3, 4                                  // 000000009114: D2890052 00010903
	s_lshr_b32 s61, s82, 24                                    // 00000000911C: 8F3D9852
	s_and_b32 s82, s82, 0xffffff                               // 000000009120: 8652FF52 00FFFFFF
	s_mul_i32 s82, s82, s71                                    // 000000009128: 92524752
	s_mul_i32 s61, s60, s61                                    // 00000000912C: 923D3D3C
	s_add_u32 s82, s82, s61                                    // 000000009130: 80523D52
	v_mul_lo_u32 v6, v5, s82                                   // 000000009134: D2850006 0000A505
	v_readlane_b32 s82, v3, 5                                  // 00000000913C: D2890052 00010B03
	s_lshr_b32 s61, s82, 24                                    // 000000009144: 8F3D9852
	s_and_b32 s82, s82, 0xffffff                               // 000000009148: 8652FF52 00FFFFFF
	s_mul_i32 s82, s82, s71                                    // 000000009150: 92524752
	s_mul_i32 s61, s60, s61                                    // 000000009154: 923D3D3C
	s_add_u32 s82, s82, s61                                    // 000000009158: 80523D52
	v_mul_lo_u32 v7, v4, s82                                   // 00000000915C: D2850007 0000A504
	v_add_u32_e32 v52, v6, v7                                  // 000000009164: 68680F06
	v_readlane_b32 s82, v3, 6                                  // 000000009168: D2890052 00010D03
	s_lshr_b32 s61, s82, 24                                    // 000000009170: 8F3D9852
	s_and_b32 s82, s82, 0xffffff                               // 000000009174: 8652FF52 00FFFFFF
	s_mul_i32 s82, s82, s71                                    // 00000000917C: 92524752
	s_mul_i32 s61, s60, s61                                    // 000000009180: 923D3D3C
	s_add_u32 s82, s82, s61                                    // 000000009184: 80523D52
	v_mul_lo_u32 v6, v5, s82                                   // 000000009188: D2850006 0000A505
	v_readlane_b32 s82, v3, 7                                  // 000000009190: D2890052 00010F03
	s_lshr_b32 s61, s82, 24                                    // 000000009198: 8F3D9852
	s_and_b32 s82, s82, 0xffffff                               // 00000000919C: 8652FF52 00FFFFFF
	s_mul_i32 s82, s82, s71                                    // 0000000091A4: 92524752
	s_mul_i32 s61, s60, s61                                    // 0000000091A8: 923D3D3C
	s_add_u32 s82, s82, s61                                    // 0000000091AC: 80523D52
	v_mul_lo_u32 v7, v4, s82                                   // 0000000091B0: D2850007 0000A504
	v_add_u32_e32 v53, v6, v7                                  // 0000000091B8: 686A0F06
	v_readlane_b32 s82, v3, 8                                  // 0000000091BC: D2890052 00011103
	s_lshr_b32 s61, s82, 24                                    // 0000000091C4: 8F3D9852
	s_and_b32 s82, s82, 0xffffff                               // 0000000091C8: 8652FF52 00FFFFFF
	s_mul_i32 s82, s82, s71                                    // 0000000091D0: 92524752
	s_mul_i32 s61, s60, s61                                    // 0000000091D4: 923D3D3C
	s_add_u32 s82, s82, s61                                    // 0000000091D8: 80523D52
	v_mul_lo_u32 v6, v5, s82                                   // 0000000091DC: D2850006 0000A505
	v_readlane_b32 s82, v3, 9                                  // 0000000091E4: D2890052 00011303
	s_lshr_b32 s61, s82, 24                                    // 0000000091EC: 8F3D9852
	s_and_b32 s82, s82, 0xffffff                               // 0000000091F0: 8652FF52 00FFFFFF
	s_mul_i32 s82, s82, s71                                    // 0000000091F8: 92524752
	s_mul_i32 s61, s60, s61                                    // 0000000091FC: 923D3D3C
	s_add_u32 s82, s82, s61                                    // 000000009200: 80523D52
	v_mul_lo_u32 v7, v4, s82                                   // 000000009204: D2850007 0000A504
	v_add_u32_e32 v54, v6, v7                                  // 00000000920C: 686C0F06
	v_readlane_b32 s82, v3, 10                                 // 000000009210: D2890052 00011503
	s_lshr_b32 s61, s82, 24                                    // 000000009218: 8F3D9852
	s_and_b32 s82, s82, 0xffffff                               // 00000000921C: 8652FF52 00FFFFFF
	s_mul_i32 s82, s82, s71                                    // 000000009224: 92524752
	s_mul_i32 s61, s60, s61                                    // 000000009228: 923D3D3C
	s_add_u32 s82, s82, s61                                    // 00000000922C: 80523D52
	v_mul_lo_u32 v6, v5, s82                                   // 000000009230: D2850006 0000A505
	v_readlane_b32 s82, v3, 11                                 // 000000009238: D2890052 00011703
	s_lshr_b32 s61, s82, 24                                    // 000000009240: 8F3D9852
	s_and_b32 s82, s82, 0xffffff                               // 000000009244: 8652FF52 00FFFFFF
	s_mul_i32 s82, s82, s71                                    // 00000000924C: 92524752
	s_mul_i32 s61, s60, s61                                    // 000000009250: 923D3D3C
	s_add_u32 s82, s82, s61                                    // 000000009254: 80523D52
	v_mul_lo_u32 v7, v4, s82                                   // 000000009258: D2850007 0000A504
	v_add_u32_e32 v55, v6, v7                                  // 000000009260: 686E0F06
	v_readlane_b32 s82, v3, 12                                 // 000000009264: D2890052 00011903
	s_lshr_b32 s61, s82, 24                                    // 00000000926C: 8F3D9852
	s_and_b32 s82, s82, 0xffffff                               // 000000009270: 8652FF52 00FFFFFF
	s_mul_i32 s82, s82, s71                                    // 000000009278: 92524752
	s_mul_i32 s61, s60, s61                                    // 00000000927C: 923D3D3C
	s_add_u32 s82, s82, s61                                    // 000000009280: 80523D52
	v_mul_lo_u32 v6, v5, s82                                   // 000000009284: D2850006 0000A505
	v_readlane_b32 s82, v3, 13                                 // 00000000928C: D2890052 00011B03
	s_lshr_b32 s61, s82, 24                                    // 000000009294: 8F3D9852
	s_and_b32 s82, s82, 0xffffff                               // 000000009298: 8652FF52 00FFFFFF
	s_mul_i32 s82, s82, s71                                    // 0000000092A0: 92524752
	s_mul_i32 s61, s60, s61                                    // 0000000092A4: 923D3D3C
	s_add_u32 s82, s82, s61                                    // 0000000092A8: 80523D52
	v_mul_lo_u32 v7, v4, s82                                   // 0000000092AC: D2850007 0000A504
	v_add_u32_e32 v56, v6, v7                                  // 0000000092B4: 68700F06
	v_readlane_b32 s82, v3, 14                                 // 0000000092B8: D2890052 00011D03
	s_lshr_b32 s61, s82, 24                                    // 0000000092C0: 8F3D9852
	s_and_b32 s82, s82, 0xffffff                               // 0000000092C4: 8652FF52 00FFFFFF
	s_mul_i32 s82, s82, s71                                    // 0000000092CC: 92524752
	s_mul_i32 s61, s60, s61                                    // 0000000092D0: 923D3D3C
	s_add_u32 s82, s82, s61                                    // 0000000092D4: 80523D52
	v_mul_lo_u32 v6, v5, s82                                   // 0000000092D8: D2850006 0000A505
	v_readlane_b32 s82, v3, 15                                 // 0000000092E0: D2890052 00011F03
	s_lshr_b32 s61, s82, 24                                    // 0000000092E8: 8F3D9852
	s_and_b32 s82, s82, 0xffffff                               // 0000000092EC: 8652FF52 00FFFFFF
	s_mul_i32 s82, s82, s71                                    // 0000000092F4: 92524752
	s_mul_i32 s61, s60, s61                                    // 0000000092F8: 923D3D3C
	s_add_u32 s82, s82, s61                                    // 0000000092FC: 80523D52
	v_mul_lo_u32 v7, v4, s82                                   // 000000009300: D2850007 0000A504
	v_add_u32_e32 v57, v6, v7                                  // 000000009308: 68720F06
	v_readlane_b32 s82, v3, 16                                 // 00000000930C: D2890052 00012103
	s_lshr_b32 s61, s82, 24                                    // 000000009314: 8F3D9852
	s_and_b32 s82, s82, 0xffffff                               // 000000009318: 8652FF52 00FFFFFF
	s_mul_i32 s82, s82, s71                                    // 000000009320: 92524752
	s_mul_i32 s61, s60, s61                                    // 000000009324: 923D3D3C
	s_add_u32 s82, s82, s61                                    // 000000009328: 80523D52
	v_mul_lo_u32 v6, v5, s82                                   // 00000000932C: D2850006 0000A505
	v_readlane_b32 s82, v3, 17                                 // 000000009334: D2890052 00012303
	s_lshr_b32 s61, s82, 24                                    // 00000000933C: 8F3D9852
	s_and_b32 s82, s82, 0xffffff                               // 000000009340: 8652FF52 00FFFFFF
	s_mul_i32 s82, s82, s71                                    // 000000009348: 92524752
	s_mul_i32 s61, s60, s61                                    // 00000000934C: 923D3D3C
	s_add_u32 s82, s82, s61                                    // 000000009350: 80523D52
	v_mul_lo_u32 v7, v4, s82                                   // 000000009354: D2850007 0000A504
	v_add_u32_e32 v58, v6, v7                                  // 00000000935C: 68740F06
	v_readlane_b32 s82, v3, 18                                 // 000000009360: D2890052 00012503
	s_lshr_b32 s61, s82, 24                                    // 000000009368: 8F3D9852
	s_and_b32 s82, s82, 0xffffff                               // 00000000936C: 8652FF52 00FFFFFF
	s_mul_i32 s82, s82, s71                                    // 000000009374: 92524752
	s_mul_i32 s61, s60, s61                                    // 000000009378: 923D3D3C
	s_add_u32 s82, s82, s61                                    // 00000000937C: 80523D52
	v_mul_lo_u32 v6, v5, s82                                   // 000000009380: D2850006 0000A505
	v_readlane_b32 s82, v3, 19                                 // 000000009388: D2890052 00012703
	s_lshr_b32 s61, s82, 24                                    // 000000009390: 8F3D9852
	s_and_b32 s82, s82, 0xffffff                               // 000000009394: 8652FF52 00FFFFFF
	s_mul_i32 s82, s82, s71                                    // 00000000939C: 92524752
	s_mul_i32 s61, s60, s61                                    // 0000000093A0: 923D3D3C
	s_add_u32 s82, s82, s61                                    // 0000000093A4: 80523D52
	v_mul_lo_u32 v7, v4, s82                                   // 0000000093A8: D2850007 0000A504
	v_add_u32_e32 v59, v6, v7                                  // 0000000093B0: 68760F06
	v_and_b32_e32 v4, 31, v0                                   // 0000000093B4: 2608009F
	v_lshrrev_b32_e32 v4, 1, v4                                // 0000000093B8: 20080881
	s_cmp_eq_u32 s88, 0                                        // 0000000093BC: BF068058
	s_cselect_b32 s61, 2, 4                                    // 0000000093C0: 853D8482
	v_mul_lo_u32 v4, v4, s61                                   // 0000000093C4: D2850004 00007B04
	v_and_b32_e64 v5, v0, 1                                    // 0000000093CC: D1130005 00010300
	v_add_u32_e32 v4, v4, v5                                   // 0000000093D4: 68080B04
	v_lshlrev_b32_e32 v4, 2, v4                                // 0000000093D8: 24080882
	v_add_u32_e32 v50, v50, v4                                 // 0000000093DC: 68640932
	v_add_u32_e32 v51, v51, v4                                 // 0000000093E0: 68660933
	v_add_u32_e32 v52, v52, v4                                 // 0000000093E4: 68680934
	v_add_u32_e32 v53, v53, v4                                 // 0000000093E8: 686A0935
	v_add_u32_e32 v54, v54, v4                                 // 0000000093EC: 686C0936
	v_add_u32_e32 v55, v55, v4                                 // 0000000093F0: 686E0937
	v_add_u32_e32 v56, v56, v4                                 // 0000000093F4: 68700938
	v_add_u32_e32 v57, v57, v4                                 // 0000000093F8: 68720939
	v_add_u32_e32 v58, v58, v4                                 // 0000000093FC: 6874093A
	v_add_u32_e32 v59, v59, v4                                 // 000000009400: 6876093B
	s_waitcnt lgkmcnt(0)                                       // 000000009404: BF8CC07F
	s_barrier                                                  // 000000009408: BF8A0000
	ds_read_b32 v64, v21                                       // 00000000940C: D86C0000 40000015
	ds_read_b32 v65, v21 offset:64                             // 000000009414: D86C0040 41000015
	ds_read_b32 v68, v21 offset:2176                           // 00000000941C: D86C0880 44000015
	ds_read_b32 v69, v21 offset:2240                           // 000000009424: D86C08C0 45000015
	ds_read_b32 v72, v21 offset:4352                           // 00000000942C: D86C1100 48000015
	ds_read_b32 v73, v21 offset:4416                           // 000000009434: D86C1140 49000015
	ds_read_b32 v76, v21 offset:6528                           // 00000000943C: D86C1980 4C000015
	ds_read_b32 v77, v21 offset:6592                           // 000000009444: D86C19C0 4D000015
	ds_read_b32 v80, v21 offset:8704                           // 00000000944C: D86C2200 50000015
	ds_read_b32 v81, v21 offset:8768                           // 000000009454: D86C2240 51000015
	ds_read_b32 v84, v21 offset:10880                          // 00000000945C: D86C2A80 54000015
	ds_read_b32 v85, v21 offset:10944                          // 000000009464: D86C2AC0 55000015
	ds_read_b32 v88, v21 offset:13056                          // 00000000946C: D86C3300 58000015
	ds_read_b32 v89, v21 offset:13120                          // 000000009474: D86C3340 59000015
	ds_read_b32 v92, v21 offset:15232                          // 00000000947C: D86C3B80 5C000015
	ds_read_b32 v93, v21 offset:15296                          // 000000009484: D86C3BC0 5D000015
	ds_read_b32 v96, v21 offset:17408                          // 00000000948C: D86C4400 60000015
	ds_read_b32 v97, v21 offset:17472                          // 000000009494: D86C4440 61000015
	ds_read_b32 v100, v21 offset:19584                         // 00000000949C: D86C4C80 64000015
	ds_read_b32 v101, v21 offset:19648                         // 0000000094A4: D86C4CC0 65000015
	ds_read_b32 v104, v21 offset:21760                         // 0000000094AC: D86C5500 68000015
	ds_read_b32 v105, v21 offset:21824                         // 0000000094B4: D86C5540 69000015
	ds_read_b32 v108, v21 offset:23936                         // 0000000094BC: D86C5D80 6C000015
	ds_read_b32 v109, v21 offset:24000                         // 0000000094C4: D86C5DC0 6D000015
	ds_read_b32 v112, v21 offset:26112                         // 0000000094CC: D86C6600 70000015
	ds_read_b32 v113, v21 offset:26176                         // 0000000094D4: D86C6640 71000015
	ds_read_b32 v116, v21 offset:28288                         // 0000000094DC: D86C6E80 74000015
	ds_read_b32 v117, v21 offset:28352                         // 0000000094E4: D86C6EC0 75000015
	ds_read_b32 v120, v21 offset:30464                         // 0000000094EC: D86C7700 78000015
	ds_read_b32 v121, v21 offset:30528                         // 0000000094F4: D86C7740 79000015
	ds_read_b32 v124, v21 offset:32640                         // 0000000094FC: D86C7F80 7C000015
	ds_read_b32 v125, v21 offset:32704                         // 000000009504: D86C7FC0 7D000015
	ds_read_b32 v128, v21 offset:34816                         // 00000000950C: D86C8800 80000015
	ds_read_b32 v129, v21 offset:34880                         // 000000009514: D86C8840 81000015
	ds_read_b32 v132, v21 offset:36992                         // 00000000951C: D86C9080 84000015
	ds_read_b32 v133, v21 offset:37056                         // 000000009524: D86C90C0 85000015
	ds_read_b32 v136, v21 offset:39168                         // 00000000952C: D86C9900 88000015
	ds_read_b32 v137, v21 offset:39232                         // 000000009534: D86C9940 89000015
	ds_read_b32 v140, v21 offset:41344                         // 00000000953C: D86CA180 8C000015
	ds_read_b32 v141, v21 offset:41408                         // 000000009544: D86CA1C0 8D000015
	s_waitcnt lgkmcnt(0)                                       // 00000000954C: BF8CC07F
	s_mov_b32 s36, -1                                          // 000000009550: BEA400C1
	s_mov_b32 s37, -1                                          // 000000009554: BEA500C1
	v_mov_b32_e32 v7, 0                                        // 000000009558: 7E0E0280
	s_mov_b64 exec, s[36:37]                                   // 00000000955C: BEFE0124
	v_mov_b32_e32 v6, v50                                      // 000000009560: 7E0C0332
	s_mov_b64 s[60:61], 0                                      // 000000009564: BEBC0180
	v_readlane_b32 s82, v3, 0                                  // 000000009568: D2890052 00010103
	s_and_b32 s82, s82, 0xffffff                               // 000000009570: 8652FF52 00FFFFFF
	s_cmp_lt_u32 s82, s66                                      // 000000009578: BF0A4252
	s_cselect_b32 s20, s36, s60                                // 00000000957C: 85143C24
	v_readlane_b32 s82, v3, 1                                  // 000000009580: D2890052 00010303
	s_and_b32 s82, s82, 0xffffff                               // 000000009588: 8652FF52 00FFFFFF
	s_cmp_lt_u32 s82, s66                                      // 000000009590: BF0A4252
	s_cselect_b32 s21, s36, s60                                // 000000009594: 85153C24
	s_mov_b64 exec, s[20:21]                                   // 000000009598: BEFE0114
	global_atomic_add_f32 v6, v64, s[8:9]                      // 00000000959C: DD348000 00084006
	global_atomic_add_f32 v6, v68, s[8:9] offset:256           // 0000000095A4: DD348100 00084406
	global_atomic_add_f32 v6, v72, s[8:9] offset:512           // 0000000095AC: DD348200 00084806
	global_atomic_add_f32 v6, v76, s[8:9] offset:768           // 0000000095B4: DD348300 00084C06
	s_mov_b64 exec, s[36:37]                                   // 0000000095BC: BEFE0124
	v_mov_b32_e32 v6, v51                                      // 0000000095C0: 7E0C0333
	s_mov_b64 s[60:61], 0                                      // 0000000095C4: BEBC0180
	v_readlane_b32 s82, v3, 2                                  // 0000000095C8: D2890052 00010503
	s_and_b32 s82, s82, 0xffffff                               // 0000000095D0: 8652FF52 00FFFFFF
	s_cmp_lt_u32 s82, s66                                      // 0000000095D8: BF0A4252
	s_cselect_b32 s20, s36, s60                                // 0000000095DC: 85143C24
	v_readlane_b32 s82, v3, 3                                  // 0000000095E0: D2890052 00010703
	s_and_b32 s82, s82, 0xffffff                               // 0000000095E8: 8652FF52 00FFFFFF
	s_cmp_lt_u32 s82, s66                                      // 0000000095F0: BF0A4252
	s_cselect_b32 s21, s36, s60                                // 0000000095F4: 85153C24
	s_mov_b64 exec, s[20:21]                                   // 0000000095F8: BEFE0114
	global_atomic_add_f32 v6, v65, s[8:9]                      // 0000000095FC: DD348000 00084106
	global_atomic_add_f32 v6, v69, s[8:9] offset:256           // 000000009604: DD348100 00084506
	global_atomic_add_f32 v6, v73, s[8:9] offset:512           // 00000000960C: DD348200 00084906
	global_atomic_add_f32 v6, v77, s[8:9] offset:768           // 000000009614: DD348300 00084D06
	s_mov_b64 exec, s[36:37]                                   // 00000000961C: BEFE0124
	v_mov_b32_e32 v6, v52                                      // 000000009620: 7E0C0334
	s_mov_b64 s[60:61], 0                                      // 000000009624: BEBC0180
	v_readlane_b32 s82, v3, 4                                  // 000000009628: D2890052 00010903
	s_and_b32 s82, s82, 0xffffff                               // 000000009630: 8652FF52 00FFFFFF
	s_cmp_lt_u32 s82, s66                                      // 000000009638: BF0A4252
	s_cselect_b32 s20, s36, s60                                // 00000000963C: 85143C24
	v_readlane_b32 s82, v3, 5                                  // 000000009640: D2890052 00010B03
	s_and_b32 s82, s82, 0xffffff                               // 000000009648: 8652FF52 00FFFFFF
	s_cmp_lt_u32 s82, s66                                      // 000000009650: BF0A4252
	s_cselect_b32 s21, s36, s60                                // 000000009654: 85153C24
	s_mov_b64 exec, s[20:21]                                   // 000000009658: BEFE0114
	global_atomic_add_f32 v6, v80, s[8:9]                      // 00000000965C: DD348000 00085006
	global_atomic_add_f32 v6, v84, s[8:9] offset:256           // 000000009664: DD348100 00085406
	global_atomic_add_f32 v6, v88, s[8:9] offset:512           // 00000000966C: DD348200 00085806
	global_atomic_add_f32 v6, v92, s[8:9] offset:768           // 000000009674: DD348300 00085C06
	s_mov_b64 exec, s[36:37]                                   // 00000000967C: BEFE0124
	v_mov_b32_e32 v6, v53                                      // 000000009680: 7E0C0335
	s_mov_b64 s[60:61], 0                                      // 000000009684: BEBC0180
	v_readlane_b32 s82, v3, 6                                  // 000000009688: D2890052 00010D03
	s_and_b32 s82, s82, 0xffffff                               // 000000009690: 8652FF52 00FFFFFF
	s_cmp_lt_u32 s82, s66                                      // 000000009698: BF0A4252
	s_cselect_b32 s20, s36, s60                                // 00000000969C: 85143C24
	v_readlane_b32 s82, v3, 7                                  // 0000000096A0: D2890052 00010F03
	s_and_b32 s82, s82, 0xffffff                               // 0000000096A8: 8652FF52 00FFFFFF
	s_cmp_lt_u32 s82, s66                                      // 0000000096B0: BF0A4252
	s_cselect_b32 s21, s36, s60                                // 0000000096B4: 85153C24
	s_mov_b64 exec, s[20:21]                                   // 0000000096B8: BEFE0114
	global_atomic_add_f32 v6, v81, s[8:9]                      // 0000000096BC: DD348000 00085106
	global_atomic_add_f32 v6, v85, s[8:9] offset:256           // 0000000096C4: DD348100 00085506
	global_atomic_add_f32 v6, v89, s[8:9] offset:512           // 0000000096CC: DD348200 00085906
	global_atomic_add_f32 v6, v93, s[8:9] offset:768           // 0000000096D4: DD348300 00085D06
	s_mov_b64 exec, s[36:37]                                   // 0000000096DC: BEFE0124
	v_mov_b32_e32 v6, v54                                      // 0000000096E0: 7E0C0336
	s_mov_b64 s[60:61], 0                                      // 0000000096E4: BEBC0180
	v_readlane_b32 s82, v3, 8                                  // 0000000096E8: D2890052 00011103
	s_and_b32 s82, s82, 0xffffff                               // 0000000096F0: 8652FF52 00FFFFFF
	s_cmp_lt_u32 s82, s66                                      // 0000000096F8: BF0A4252
	s_cselect_b32 s20, s36, s60                                // 0000000096FC: 85143C24
	v_readlane_b32 s82, v3, 9                                  // 000000009700: D2890052 00011303
	s_and_b32 s82, s82, 0xffffff                               // 000000009708: 8652FF52 00FFFFFF
	s_cmp_lt_u32 s82, s66                                      // 000000009710: BF0A4252
	s_cselect_b32 s21, s36, s60                                // 000000009714: 85153C24
	s_mov_b64 exec, s[20:21]                                   // 000000009718: BEFE0114
	global_atomic_add_f32 v6, v96, s[8:9]                      // 00000000971C: DD348000 00086006
	global_atomic_add_f32 v6, v100, s[8:9] offset:256          // 000000009724: DD348100 00086406
	global_atomic_add_f32 v6, v104, s[8:9] offset:512          // 00000000972C: DD348200 00086806
	global_atomic_add_f32 v6, v108, s[8:9] offset:768          // 000000009734: DD348300 00086C06
	s_mov_b64 exec, s[36:37]                                   // 00000000973C: BEFE0124
	v_mov_b32_e32 v6, v55                                      // 000000009740: 7E0C0337
	s_mov_b64 s[60:61], 0                                      // 000000009744: BEBC0180
	v_readlane_b32 s82, v3, 10                                 // 000000009748: D2890052 00011503
	s_and_b32 s82, s82, 0xffffff                               // 000000009750: 8652FF52 00FFFFFF
	s_cmp_lt_u32 s82, s66                                      // 000000009758: BF0A4252
	s_cselect_b32 s20, s36, s60                                // 00000000975C: 85143C24
	v_readlane_b32 s82, v3, 11                                 // 000000009760: D2890052 00011703
	s_and_b32 s82, s82, 0xffffff                               // 000000009768: 8652FF52 00FFFFFF
	s_cmp_lt_u32 s82, s66                                      // 000000009770: BF0A4252
	s_cselect_b32 s21, s36, s60                                // 000000009774: 85153C24
	s_mov_b64 exec, s[20:21]                                   // 000000009778: BEFE0114
	global_atomic_add_f32 v6, v97, s[8:9]                      // 00000000977C: DD348000 00086106
	global_atomic_add_f32 v6, v101, s[8:9] offset:256          // 000000009784: DD348100 00086506
	global_atomic_add_f32 v6, v105, s[8:9] offset:512          // 00000000978C: DD348200 00086906
	global_atomic_add_f32 v6, v109, s[8:9] offset:768          // 000000009794: DD348300 00086D06
	s_mov_b64 exec, s[36:37]                                   // 00000000979C: BEFE0124
	v_mov_b32_e32 v6, v56                                      // 0000000097A0: 7E0C0338
	s_mov_b64 s[60:61], 0                                      // 0000000097A4: BEBC0180
	v_readlane_b32 s82, v3, 12                                 // 0000000097A8: D2890052 00011903
	s_and_b32 s82, s82, 0xffffff                               // 0000000097B0: 8652FF52 00FFFFFF
	s_cmp_lt_u32 s82, s66                                      // 0000000097B8: BF0A4252
	s_cselect_b32 s20, s36, s60                                // 0000000097BC: 85143C24
	v_readlane_b32 s82, v3, 13                                 // 0000000097C0: D2890052 00011B03
	s_and_b32 s82, s82, 0xffffff                               // 0000000097C8: 8652FF52 00FFFFFF
	s_cmp_lt_u32 s82, s66                                      // 0000000097D0: BF0A4252
	s_cselect_b32 s21, s36, s60                                // 0000000097D4: 85153C24
	s_mov_b64 exec, s[20:21]                                   // 0000000097D8: BEFE0114
	global_atomic_add_f32 v6, v112, s[8:9]                     // 0000000097DC: DD348000 00087006
	global_atomic_add_f32 v6, v116, s[8:9] offset:256          // 0000000097E4: DD348100 00087406
	global_atomic_add_f32 v6, v120, s[8:9] offset:512          // 0000000097EC: DD348200 00087806
	global_atomic_add_f32 v6, v124, s[8:9] offset:768          // 0000000097F4: DD348300 00087C06
	s_mov_b64 exec, s[36:37]                                   // 0000000097FC: BEFE0124
	v_mov_b32_e32 v6, v57                                      // 000000009800: 7E0C0339
	s_mov_b64 s[60:61], 0                                      // 000000009804: BEBC0180
	v_readlane_b32 s82, v3, 14                                 // 000000009808: D2890052 00011D03
	s_and_b32 s82, s82, 0xffffff                               // 000000009810: 8652FF52 00FFFFFF
	s_cmp_lt_u32 s82, s66                                      // 000000009818: BF0A4252
	s_cselect_b32 s20, s36, s60                                // 00000000981C: 85143C24
	v_readlane_b32 s82, v3, 15                                 // 000000009820: D2890052 00011F03
	s_and_b32 s82, s82, 0xffffff                               // 000000009828: 8652FF52 00FFFFFF
	s_cmp_lt_u32 s82, s66                                      // 000000009830: BF0A4252
	s_cselect_b32 s21, s36, s60                                // 000000009834: 85153C24
	s_mov_b64 exec, s[20:21]                                   // 000000009838: BEFE0114
	global_atomic_add_f32 v6, v113, s[8:9]                     // 00000000983C: DD348000 00087106
	global_atomic_add_f32 v6, v117, s[8:9] offset:256          // 000000009844: DD348100 00087506
	global_atomic_add_f32 v6, v121, s[8:9] offset:512          // 00000000984C: DD348200 00087906
	global_atomic_add_f32 v6, v125, s[8:9] offset:768          // 000000009854: DD348300 00087D06
	s_mov_b64 exec, s[36:37]                                   // 00000000985C: BEFE0124
	v_mov_b32_e32 v6, v58                                      // 000000009860: 7E0C033A
	s_mov_b64 s[60:61], 0                                      // 000000009864: BEBC0180
	v_readlane_b32 s82, v3, 16                                 // 000000009868: D2890052 00012103
	s_and_b32 s82, s82, 0xffffff                               // 000000009870: 8652FF52 00FFFFFF
	s_cmp_lt_u32 s82, s66                                      // 000000009878: BF0A4252
	s_cselect_b32 s20, s36, s60                                // 00000000987C: 85143C24
	v_readlane_b32 s82, v3, 17                                 // 000000009880: D2890052 00012303
	s_and_b32 s82, s82, 0xffffff                               // 000000009888: 8652FF52 00FFFFFF
	s_cmp_lt_u32 s82, s66                                      // 000000009890: BF0A4252
	s_cselect_b32 s21, s36, s60                                // 000000009894: 85153C24
	s_mov_b64 exec, s[20:21]                                   // 000000009898: BEFE0114
	global_atomic_add_f32 v6, v128, s[8:9]                     // 00000000989C: DD348000 00088006
	global_atomic_add_f32 v6, v132, s[8:9] offset:256          // 0000000098A4: DD348100 00088406
	global_atomic_add_f32 v6, v136, s[8:9] offset:512          // 0000000098AC: DD348200 00088806
	global_atomic_add_f32 v6, v140, s[8:9] offset:768          // 0000000098B4: DD348300 00088C06
	s_mov_b64 exec, s[36:37]                                   // 0000000098BC: BEFE0124
	v_mov_b32_e32 v6, v59                                      // 0000000098C0: 7E0C033B
	s_mov_b64 s[60:61], 0                                      // 0000000098C4: BEBC0180
	v_readlane_b32 s82, v3, 18                                 // 0000000098C8: D2890052 00012503
	s_and_b32 s82, s82, 0xffffff                               // 0000000098D0: 8652FF52 00FFFFFF
	s_cmp_lt_u32 s82, s66                                      // 0000000098D8: BF0A4252
	s_cselect_b32 s20, s36, s60                                // 0000000098DC: 85143C24
	v_readlane_b32 s82, v3, 19                                 // 0000000098E0: D2890052 00012703
	s_and_b32 s82, s82, 0xffffff                               // 0000000098E8: 8652FF52 00FFFFFF
	s_cmp_lt_u32 s82, s66                                      // 0000000098F0: BF0A4252
	s_cselect_b32 s21, s36, s60                                // 0000000098F4: 85153C24
	s_mov_b64 exec, s[20:21]                                   // 0000000098F8: BEFE0114
	global_atomic_add_f32 v6, v129, s[8:9]                     // 0000000098FC: DD348000 00088106
	global_atomic_add_f32 v6, v133, s[8:9] offset:256          // 000000009904: DD348100 00088506
	global_atomic_add_f32 v6, v137, s[8:9] offset:512          // 00000000990C: DD348200 00088906
	global_atomic_add_f32 v6, v141, s[8:9] offset:768          // 000000009914: DD348300 00088D06
	s_mov_b64 exec, s[36:37]                                   // 00000000991C: BEFE0124
	ds_write_b64 v20, v[66:67]                                 // 000000009920: D89A0000 00004214
	ds_write_b64 v20, v[70:71] offset:8704                     // 000000009928: D89A2200 00004614
	ds_write_b64 v20, v[74:75] offset:17408                    // 000000009930: D89A4400 00004A14
	ds_write_b64 v20, v[78:79] offset:26112                    // 000000009938: D89A6600 00004E14
	ds_write_b64 v20, v[82:83] offset:34816                    // 000000009940: D89A8800 00005214
	ds_write_b64 v20, v[86:87] offset:2176                     // 000000009948: D89A0880 00005614
	ds_write_b64 v20, v[90:91] offset:10880                    // 000000009950: D89A2A80 00005A14
	ds_write_b64 v20, v[94:95] offset:19584                    // 000000009958: D89A4C80 00005E14
	ds_write_b64 v20, v[98:99] offset:28288                    // 000000009960: D89A6E80 00006214
	ds_write_b64 v20, v[102:103] offset:36992                  // 000000009968: D89A9080 00006614
	ds_write_b64 v20, v[106:107] offset:4352                   // 000000009970: D89A1100 00006A14
	ds_write_b64 v20, v[110:111] offset:13056                  // 000000009978: D89A3300 00006E14
	ds_write_b64 v20, v[114:115] offset:21760                  // 000000009980: D89A5500 00007214
	ds_write_b64 v20, v[118:119] offset:30464                  // 000000009988: D89A7700 00007614
	ds_write_b64 v20, v[122:123] offset:39168                  // 000000009990: D89A9900 00007A14
	ds_write_b64 v20, v[126:127] offset:6528                   // 000000009998: D89A1980 00007E14
	ds_write_b64 v20, v[130:131] offset:15232                  // 0000000099A0: D89A3B80 00008214
	ds_write_b64 v20, v[134:135] offset:23936                  // 0000000099A8: D89A5D80 00008614
	ds_write_b64 v20, v[138:139] offset:32640                  // 0000000099B0: D89A7F80 00008A14
	ds_write_b64 v20, v[142:143] offset:41344                  // 0000000099B8: D89AA180 00008E14
	s_waitcnt lgkmcnt(0)                                       // 0000000099C0: BF8CC07F
	s_barrier                                                  // 0000000099C4: BF8A0000
	ds_read_b32 v66, v21                                       // 0000000099C8: D86C0000 42000015
	ds_read_b32 v67, v21 offset:64                             // 0000000099D0: D86C0040 43000015
	ds_read_b32 v70, v21 offset:2176                           // 0000000099D8: D86C0880 46000015
	ds_read_b32 v71, v21 offset:2240                           // 0000000099E0: D86C08C0 47000015
	ds_read_b32 v74, v21 offset:4352                           // 0000000099E8: D86C1100 4A000015
	ds_read_b32 v75, v21 offset:4416                           // 0000000099F0: D86C1140 4B000015
	ds_read_b32 v78, v21 offset:6528                           // 0000000099F8: D86C1980 4E000015
	ds_read_b32 v79, v21 offset:6592                           // 000000009A00: D86C19C0 4F000015
	ds_read_b32 v82, v21 offset:8704                           // 000000009A08: D86C2200 52000015
	ds_read_b32 v83, v21 offset:8768                           // 000000009A10: D86C2240 53000015
	ds_read_b32 v86, v21 offset:10880                          // 000000009A18: D86C2A80 56000015
	ds_read_b32 v87, v21 offset:10944                          // 000000009A20: D86C2AC0 57000015
	ds_read_b32 v90, v21 offset:13056                          // 000000009A28: D86C3300 5A000015
	ds_read_b32 v91, v21 offset:13120                          // 000000009A30: D86C3340 5B000015
	ds_read_b32 v94, v21 offset:15232                          // 000000009A38: D86C3B80 5E000015
	ds_read_b32 v95, v21 offset:15296                          // 000000009A40: D86C3BC0 5F000015
	ds_read_b32 v98, v21 offset:17408                          // 000000009A48: D86C4400 62000015
	ds_read_b32 v99, v21 offset:17472                          // 000000009A50: D86C4440 63000015
	ds_read_b32 v102, v21 offset:19584                         // 000000009A58: D86C4C80 66000015
	ds_read_b32 v103, v21 offset:19648                         // 000000009A60: D86C4CC0 67000015
	ds_read_b32 v106, v21 offset:21760                         // 000000009A68: D86C5500 6A000015
	ds_read_b32 v107, v21 offset:21824                         // 000000009A70: D86C5540 6B000015
	ds_read_b32 v110, v21 offset:23936                         // 000000009A78: D86C5D80 6E000015
	ds_read_b32 v111, v21 offset:24000                         // 000000009A80: D86C5DC0 6F000015
	ds_read_b32 v114, v21 offset:26112                         // 000000009A88: D86C6600 72000015
	ds_read_b32 v115, v21 offset:26176                         // 000000009A90: D86C6640 73000015
	ds_read_b32 v118, v21 offset:28288                         // 000000009A98: D86C6E80 76000015
	ds_read_b32 v119, v21 offset:28352                         // 000000009AA0: D86C6EC0 77000015
	ds_read_b32 v122, v21 offset:30464                         // 000000009AA8: D86C7700 7A000015
	ds_read_b32 v123, v21 offset:30528                         // 000000009AB0: D86C7740 7B000015
	ds_read_b32 v126, v21 offset:32640                         // 000000009AB8: D86C7F80 7E000015
	ds_read_b32 v127, v21 offset:32704                         // 000000009AC0: D86C7FC0 7F000015
	ds_read_b32 v130, v21 offset:34816                         // 000000009AC8: D86C8800 82000015
	ds_read_b32 v131, v21 offset:34880                         // 000000009AD0: D86C8840 83000015
	ds_read_b32 v134, v21 offset:36992                         // 000000009AD8: D86C9080 86000015
	ds_read_b32 v135, v21 offset:37056                         // 000000009AE0: D86C90C0 87000015
	ds_read_b32 v138, v21 offset:39168                         // 000000009AE8: D86C9900 8A000015
	ds_read_b32 v139, v21 offset:39232                         // 000000009AF0: D86C9940 8B000015
	ds_read_b32 v142, v21 offset:41344                         // 000000009AF8: D86CA180 8E000015
	ds_read_b32 v143, v21 offset:41408                         // 000000009B00: D86CA1C0 8F000015
	s_waitcnt lgkmcnt(0)                                       // 000000009B08: BF8CC07F
	v_mov_b32_e32 v7, 0                                        // 000000009B0C: 7E0E0280
	s_mov_b64 exec, s[36:37]                                   // 000000009B10: BEFE0124
	v_mov_b32_e32 v6, v50                                      // 000000009B14: 7E0C0332
	s_mov_b64 s[60:61], 0                                      // 000000009B18: BEBC0180
	v_readlane_b32 s82, v3, 0                                  // 000000009B1C: D2890052 00010103
	s_and_b32 s82, s82, 0xffffff                               // 000000009B24: 8652FF52 00FFFFFF
	s_cmp_lt_u32 s82, s66                                      // 000000009B2C: BF0A4252
	s_cselect_b32 s20, s36, s60                                // 000000009B30: 85143C24
	v_readlane_b32 s82, v3, 1                                  // 000000009B34: D2890052 00010303
	s_and_b32 s82, s82, 0xffffff                               // 000000009B3C: 8652FF52 00FFFFFF
	s_cmp_lt_u32 s82, s66                                      // 000000009B44: BF0A4252
	s_cselect_b32 s21, s36, s60                                // 000000009B48: 85153C24
	s_mov_b64 exec, s[20:21]                                   // 000000009B4C: BEFE0114
	global_atomic_add_f32 v6, v66, s[8:9] offset:8             // 000000009B50: DD348008 00084206
	global_atomic_add_f32 v6, v70, s[8:9] offset:264           // 000000009B58: DD348108 00084606
	global_atomic_add_f32 v6, v74, s[8:9] offset:520           // 000000009B60: DD348208 00084A06
	global_atomic_add_f32 v6, v78, s[8:9] offset:776           // 000000009B68: DD348308 00084E06
	s_mov_b64 exec, s[36:37]                                   // 000000009B70: BEFE0124
	v_mov_b32_e32 v6, v51                                      // 000000009B74: 7E0C0333
	s_mov_b64 s[60:61], 0                                      // 000000009B78: BEBC0180
	v_readlane_b32 s82, v3, 2                                  // 000000009B7C: D2890052 00010503
	s_and_b32 s82, s82, 0xffffff                               // 000000009B84: 8652FF52 00FFFFFF
	s_cmp_lt_u32 s82, s66                                      // 000000009B8C: BF0A4252
	s_cselect_b32 s20, s36, s60                                // 000000009B90: 85143C24
	v_readlane_b32 s82, v3, 3                                  // 000000009B94: D2890052 00010703
	s_and_b32 s82, s82, 0xffffff                               // 000000009B9C: 8652FF52 00FFFFFF
	s_cmp_lt_u32 s82, s66                                      // 000000009BA4: BF0A4252
	s_cselect_b32 s21, s36, s60                                // 000000009BA8: 85153C24
	s_mov_b64 exec, s[20:21]                                   // 000000009BAC: BEFE0114
	global_atomic_add_f32 v6, v67, s[8:9] offset:8             // 000000009BB0: DD348008 00084306
	global_atomic_add_f32 v6, v71, s[8:9] offset:264           // 000000009BB8: DD348108 00084706
	global_atomic_add_f32 v6, v75, s[8:9] offset:520           // 000000009BC0: DD348208 00084B06
	global_atomic_add_f32 v6, v79, s[8:9] offset:776           // 000000009BC8: DD348308 00084F06
	s_mov_b64 exec, s[36:37]                                   // 000000009BD0: BEFE0124
	v_mov_b32_e32 v6, v52                                      // 000000009BD4: 7E0C0334
	s_mov_b64 s[60:61], 0                                      // 000000009BD8: BEBC0180
	v_readlane_b32 s82, v3, 4                                  // 000000009BDC: D2890052 00010903
	s_and_b32 s82, s82, 0xffffff                               // 000000009BE4: 8652FF52 00FFFFFF
	s_cmp_lt_u32 s82, s66                                      // 000000009BEC: BF0A4252
	s_cselect_b32 s20, s36, s60                                // 000000009BF0: 85143C24
	v_readlane_b32 s82, v3, 5                                  // 000000009BF4: D2890052 00010B03
	s_and_b32 s82, s82, 0xffffff                               // 000000009BFC: 8652FF52 00FFFFFF
	s_cmp_lt_u32 s82, s66                                      // 000000009C04: BF0A4252
	s_cselect_b32 s21, s36, s60                                // 000000009C08: 85153C24
	s_mov_b64 exec, s[20:21]                                   // 000000009C0C: BEFE0114
	global_atomic_add_f32 v6, v82, s[8:9] offset:8             // 000000009C10: DD348008 00085206
	global_atomic_add_f32 v6, v86, s[8:9] offset:264           // 000000009C18: DD348108 00085606
	global_atomic_add_f32 v6, v90, s[8:9] offset:520           // 000000009C20: DD348208 00085A06
	global_atomic_add_f32 v6, v94, s[8:9] offset:776           // 000000009C28: DD348308 00085E06
	s_mov_b64 exec, s[36:37]                                   // 000000009C30: BEFE0124
	v_mov_b32_e32 v6, v53                                      // 000000009C34: 7E0C0335
	s_mov_b64 s[60:61], 0                                      // 000000009C38: BEBC0180
	v_readlane_b32 s82, v3, 6                                  // 000000009C3C: D2890052 00010D03
	s_and_b32 s82, s82, 0xffffff                               // 000000009C44: 8652FF52 00FFFFFF
	s_cmp_lt_u32 s82, s66                                      // 000000009C4C: BF0A4252
	s_cselect_b32 s20, s36, s60                                // 000000009C50: 85143C24
	v_readlane_b32 s82, v3, 7                                  // 000000009C54: D2890052 00010F03
	s_and_b32 s82, s82, 0xffffff                               // 000000009C5C: 8652FF52 00FFFFFF
	s_cmp_lt_u32 s82, s66                                      // 000000009C64: BF0A4252
	s_cselect_b32 s21, s36, s60                                // 000000009C68: 85153C24
	s_mov_b64 exec, s[20:21]                                   // 000000009C6C: BEFE0114
	global_atomic_add_f32 v6, v83, s[8:9] offset:8             // 000000009C70: DD348008 00085306
	global_atomic_add_f32 v6, v87, s[8:9] offset:264           // 000000009C78: DD348108 00085706
	global_atomic_add_f32 v6, v91, s[8:9] offset:520           // 000000009C80: DD348208 00085B06
	global_atomic_add_f32 v6, v95, s[8:9] offset:776           // 000000009C88: DD348308 00085F06
	s_mov_b64 exec, s[36:37]                                   // 000000009C90: BEFE0124
	v_mov_b32_e32 v6, v54                                      // 000000009C94: 7E0C0336
	s_mov_b64 s[60:61], 0                                      // 000000009C98: BEBC0180
	v_readlane_b32 s82, v3, 8                                  // 000000009C9C: D2890052 00011103
	s_and_b32 s82, s82, 0xffffff                               // 000000009CA4: 8652FF52 00FFFFFF
	s_cmp_lt_u32 s82, s66                                      // 000000009CAC: BF0A4252
	s_cselect_b32 s20, s36, s60                                // 000000009CB0: 85143C24
	v_readlane_b32 s82, v3, 9                                  // 000000009CB4: D2890052 00011303
	s_and_b32 s82, s82, 0xffffff                               // 000000009CBC: 8652FF52 00FFFFFF
	s_cmp_lt_u32 s82, s66                                      // 000000009CC4: BF0A4252
	s_cselect_b32 s21, s36, s60                                // 000000009CC8: 85153C24
	s_mov_b64 exec, s[20:21]                                   // 000000009CCC: BEFE0114
	global_atomic_add_f32 v6, v98, s[8:9] offset:8             // 000000009CD0: DD348008 00086206
	global_atomic_add_f32 v6, v102, s[8:9] offset:264          // 000000009CD8: DD348108 00086606
	global_atomic_add_f32 v6, v106, s[8:9] offset:520          // 000000009CE0: DD348208 00086A06
	global_atomic_add_f32 v6, v110, s[8:9] offset:776          // 000000009CE8: DD348308 00086E06
	s_mov_b64 exec, s[36:37]                                   // 000000009CF0: BEFE0124
	v_mov_b32_e32 v6, v55                                      // 000000009CF4: 7E0C0337
	s_mov_b64 s[60:61], 0                                      // 000000009CF8: BEBC0180
	v_readlane_b32 s82, v3, 10                                 // 000000009CFC: D2890052 00011503
	s_and_b32 s82, s82, 0xffffff                               // 000000009D04: 8652FF52 00FFFFFF
	s_cmp_lt_u32 s82, s66                                      // 000000009D0C: BF0A4252
	s_cselect_b32 s20, s36, s60                                // 000000009D10: 85143C24
	v_readlane_b32 s82, v3, 11                                 // 000000009D14: D2890052 00011703
	s_and_b32 s82, s82, 0xffffff                               // 000000009D1C: 8652FF52 00FFFFFF
	s_cmp_lt_u32 s82, s66                                      // 000000009D24: BF0A4252
	s_cselect_b32 s21, s36, s60                                // 000000009D28: 85153C24
	s_mov_b64 exec, s[20:21]                                   // 000000009D2C: BEFE0114
	global_atomic_add_f32 v6, v99, s[8:9] offset:8             // 000000009D30: DD348008 00086306
	global_atomic_add_f32 v6, v103, s[8:9] offset:264          // 000000009D38: DD348108 00086706
	global_atomic_add_f32 v6, v107, s[8:9] offset:520          // 000000009D40: DD348208 00086B06
	global_atomic_add_f32 v6, v111, s[8:9] offset:776          // 000000009D48: DD348308 00086F06
	s_mov_b64 exec, s[36:37]                                   // 000000009D50: BEFE0124
	v_mov_b32_e32 v6, v56                                      // 000000009D54: 7E0C0338
	s_mov_b64 s[60:61], 0                                      // 000000009D58: BEBC0180
	v_readlane_b32 s82, v3, 12                                 // 000000009D5C: D2890052 00011903
	s_and_b32 s82, s82, 0xffffff                               // 000000009D64: 8652FF52 00FFFFFF
	s_cmp_lt_u32 s82, s66                                      // 000000009D6C: BF0A4252
	s_cselect_b32 s20, s36, s60                                // 000000009D70: 85143C24
	v_readlane_b32 s82, v3, 13                                 // 000000009D74: D2890052 00011B03
	s_and_b32 s82, s82, 0xffffff                               // 000000009D7C: 8652FF52 00FFFFFF
	s_cmp_lt_u32 s82, s66                                      // 000000009D84: BF0A4252
	s_cselect_b32 s21, s36, s60                                // 000000009D88: 85153C24
	s_mov_b64 exec, s[20:21]                                   // 000000009D8C: BEFE0114
	global_atomic_add_f32 v6, v114, s[8:9] offset:8            // 000000009D90: DD348008 00087206
	global_atomic_add_f32 v6, v118, s[8:9] offset:264          // 000000009D98: DD348108 00087606
	global_atomic_add_f32 v6, v122, s[8:9] offset:520          // 000000009DA0: DD348208 00087A06
	global_atomic_add_f32 v6, v126, s[8:9] offset:776          // 000000009DA8: DD348308 00087E06
	s_mov_b64 exec, s[36:37]                                   // 000000009DB0: BEFE0124
	v_mov_b32_e32 v6, v57                                      // 000000009DB4: 7E0C0339
	s_mov_b64 s[60:61], 0                                      // 000000009DB8: BEBC0180
	v_readlane_b32 s82, v3, 14                                 // 000000009DBC: D2890052 00011D03
	s_and_b32 s82, s82, 0xffffff                               // 000000009DC4: 8652FF52 00FFFFFF
	s_cmp_lt_u32 s82, s66                                      // 000000009DCC: BF0A4252
	s_cselect_b32 s20, s36, s60                                // 000000009DD0: 85143C24
	v_readlane_b32 s82, v3, 15                                 // 000000009DD4: D2890052 00011F03
	s_and_b32 s82, s82, 0xffffff                               // 000000009DDC: 8652FF52 00FFFFFF
	s_cmp_lt_u32 s82, s66                                      // 000000009DE4: BF0A4252
	s_cselect_b32 s21, s36, s60                                // 000000009DE8: 85153C24
	s_mov_b64 exec, s[20:21]                                   // 000000009DEC: BEFE0114
	global_atomic_add_f32 v6, v115, s[8:9] offset:8            // 000000009DF0: DD348008 00087306
	global_atomic_add_f32 v6, v119, s[8:9] offset:264          // 000000009DF8: DD348108 00087706
	global_atomic_add_f32 v6, v123, s[8:9] offset:520          // 000000009E00: DD348208 00087B06
	global_atomic_add_f32 v6, v127, s[8:9] offset:776          // 000000009E08: DD348308 00087F06
	s_mov_b64 exec, s[36:37]                                   // 000000009E10: BEFE0124
	v_mov_b32_e32 v6, v58                                      // 000000009E14: 7E0C033A
	s_mov_b64 s[60:61], 0                                      // 000000009E18: BEBC0180
	v_readlane_b32 s82, v3, 16                                 // 000000009E1C: D2890052 00012103
	s_and_b32 s82, s82, 0xffffff                               // 000000009E24: 8652FF52 00FFFFFF
	s_cmp_lt_u32 s82, s66                                      // 000000009E2C: BF0A4252
	s_cselect_b32 s20, s36, s60                                // 000000009E30: 85143C24
	v_readlane_b32 s82, v3, 17                                 // 000000009E34: D2890052 00012303
	s_and_b32 s82, s82, 0xffffff                               // 000000009E3C: 8652FF52 00FFFFFF
	s_cmp_lt_u32 s82, s66                                      // 000000009E44: BF0A4252
	s_cselect_b32 s21, s36, s60                                // 000000009E48: 85153C24
	s_mov_b64 exec, s[20:21]                                   // 000000009E4C: BEFE0114
	global_atomic_add_f32 v6, v130, s[8:9] offset:8            // 000000009E50: DD348008 00088206
	global_atomic_add_f32 v6, v134, s[8:9] offset:264          // 000000009E58: DD348108 00088606
	global_atomic_add_f32 v6, v138, s[8:9] offset:520          // 000000009E60: DD348208 00088A06
	global_atomic_add_f32 v6, v142, s[8:9] offset:776          // 000000009E68: DD348308 00088E06
	s_mov_b64 exec, s[36:37]                                   // 000000009E70: BEFE0124
	v_mov_b32_e32 v6, v59                                      // 000000009E74: 7E0C033B
	s_mov_b64 s[60:61], 0                                      // 000000009E78: BEBC0180
	v_readlane_b32 s82, v3, 18                                 // 000000009E7C: D2890052 00012503
	s_and_b32 s82, s82, 0xffffff                               // 000000009E84: 8652FF52 00FFFFFF
	s_cmp_lt_u32 s82, s66                                      // 000000009E8C: BF0A4252
	s_cselect_b32 s20, s36, s60                                // 000000009E90: 85143C24
	v_readlane_b32 s82, v3, 19                                 // 000000009E94: D2890052 00012703
	s_and_b32 s82, s82, 0xffffff                               // 000000009E9C: 8652FF52 00FFFFFF
	s_cmp_lt_u32 s82, s66                                      // 000000009EA4: BF0A4252
	s_cselect_b32 s21, s36, s60                                // 000000009EA8: 85153C24
	s_mov_b64 exec, s[20:21]                                   // 000000009EAC: BEFE0114
	global_atomic_add_f32 v6, v131, s[8:9] offset:8            // 000000009EB0: DD348008 00088306
	global_atomic_add_f32 v6, v135, s[8:9] offset:264          // 000000009EB8: DD348108 00088706
	global_atomic_add_f32 v6, v139, s[8:9] offset:520          // 000000009EC0: DD348208 00088B06
	global_atomic_add_f32 v6, v143, s[8:9] offset:776          // 000000009EC8: DD348308 00088F06
	s_mov_b64 exec, s[36:37]                                   // 000000009ED0: BEFE0124
	ds_write_b64 v20, v[144:145]                               // 000000009ED4: D89A0000 00009014
	ds_write_b64 v20, v[148:149] offset:8704                   // 000000009EDC: D89A2200 00009414
	ds_write_b64 v20, v[152:153] offset:17408                  // 000000009EE4: D89A4400 00009814
	ds_write_b64 v20, v[156:157] offset:26112                  // 000000009EEC: D89A6600 00009C14
	ds_write_b64 v20, v[160:161] offset:34816                  // 000000009EF4: D89A8800 0000A014
	ds_write_b64 v20, v[164:165] offset:2176                   // 000000009EFC: D89A0880 0000A414
	ds_write_b64 v20, v[168:169] offset:10880                  // 000000009F04: D89A2A80 0000A814
	ds_write_b64 v20, v[172:173] offset:19584                  // 000000009F0C: D89A4C80 0000AC14
	ds_write_b64 v20, v[176:177] offset:28288                  // 000000009F14: D89A6E80 0000B014
	ds_write_b64 v20, v[180:181] offset:36992                  // 000000009F1C: D89A9080 0000B414
	ds_write_b64 v20, v[184:185] offset:4352                   // 000000009F24: D89A1100 0000B814
	ds_write_b64 v20, v[188:189] offset:13056                  // 000000009F2C: D89A3300 0000BC14
	ds_write_b64 v20, v[192:193] offset:21760                  // 000000009F34: D89A5500 0000C014
	ds_write_b64 v20, v[196:197] offset:30464                  // 000000009F3C: D89A7700 0000C414
	ds_write_b64 v20, v[200:201] offset:39168                  // 000000009F44: D89A9900 0000C814
	ds_write_b64 v20, v[204:205] offset:6528                   // 000000009F4C: D89A1980 0000CC14
	ds_write_b64 v20, v[208:209] offset:15232                  // 000000009F54: D89A3B80 0000D014
	ds_write_b64 v20, v[212:213] offset:23936                  // 000000009F5C: D89A5D80 0000D414
	ds_write_b64 v20, v[216:217] offset:32640                  // 000000009F64: D89A7F80 0000D814
	ds_write_b64 v20, v[220:221] offset:41344                  // 000000009F6C: D89AA180 0000DC14
	s_waitcnt lgkmcnt(0)                                       // 000000009F74: BF8CC07F
	s_barrier                                                  // 000000009F78: BF8A0000
	ds_read_b32 v144, v21                                      // 000000009F7C: D86C0000 90000015
	ds_read_b32 v145, v21 offset:64                            // 000000009F84: D86C0040 91000015
	ds_read_b32 v148, v21 offset:2176                          // 000000009F8C: D86C0880 94000015
	ds_read_b32 v149, v21 offset:2240                          // 000000009F94: D86C08C0 95000015
	ds_read_b32 v152, v21 offset:4352                          // 000000009F9C: D86C1100 98000015
	ds_read_b32 v153, v21 offset:4416                          // 000000009FA4: D86C1140 99000015
	ds_read_b32 v156, v21 offset:6528                          // 000000009FAC: D86C1980 9C000015
	ds_read_b32 v157, v21 offset:6592                          // 000000009FB4: D86C19C0 9D000015
	ds_read_b32 v160, v21 offset:8704                          // 000000009FBC: D86C2200 A0000015
	ds_read_b32 v161, v21 offset:8768                          // 000000009FC4: D86C2240 A1000015
	ds_read_b32 v164, v21 offset:10880                         // 000000009FCC: D86C2A80 A4000015
	ds_read_b32 v165, v21 offset:10944                         // 000000009FD4: D86C2AC0 A5000015
	ds_read_b32 v168, v21 offset:13056                         // 000000009FDC: D86C3300 A8000015
	ds_read_b32 v169, v21 offset:13120                         // 000000009FE4: D86C3340 A9000015
	ds_read_b32 v172, v21 offset:15232                         // 000000009FEC: D86C3B80 AC000015
	ds_read_b32 v173, v21 offset:15296                         // 000000009FF4: D86C3BC0 AD000015
	ds_read_b32 v176, v21 offset:17408                         // 000000009FFC: D86C4400 B0000015
	ds_read_b32 v177, v21 offset:17472                         // 00000000A004: D86C4440 B1000015
	ds_read_b32 v180, v21 offset:19584                         // 00000000A00C: D86C4C80 B4000015
	ds_read_b32 v181, v21 offset:19648                         // 00000000A014: D86C4CC0 B5000015
	ds_read_b32 v184, v21 offset:21760                         // 00000000A01C: D86C5500 B8000015
	ds_read_b32 v185, v21 offset:21824                         // 00000000A024: D86C5540 B9000015
	ds_read_b32 v188, v21 offset:23936                         // 00000000A02C: D86C5D80 BC000015
	ds_read_b32 v189, v21 offset:24000                         // 00000000A034: D86C5DC0 BD000015
	ds_read_b32 v192, v21 offset:26112                         // 00000000A03C: D86C6600 C0000015
	ds_read_b32 v193, v21 offset:26176                         // 00000000A044: D86C6640 C1000015
	ds_read_b32 v196, v21 offset:28288                         // 00000000A04C: D86C6E80 C4000015
	ds_read_b32 v197, v21 offset:28352                         // 00000000A054: D86C6EC0 C5000015
	ds_read_b32 v200, v21 offset:30464                         // 00000000A05C: D86C7700 C8000015
	ds_read_b32 v201, v21 offset:30528                         // 00000000A064: D86C7740 C9000015
	ds_read_b32 v204, v21 offset:32640                         // 00000000A06C: D86C7F80 CC000015
	ds_read_b32 v205, v21 offset:32704                         // 00000000A074: D86C7FC0 CD000015
	ds_read_b32 v208, v21 offset:34816                         // 00000000A07C: D86C8800 D0000015
	ds_read_b32 v209, v21 offset:34880                         // 00000000A084: D86C8840 D1000015
	ds_read_b32 v212, v21 offset:36992                         // 00000000A08C: D86C9080 D4000015
	ds_read_b32 v213, v21 offset:37056                         // 00000000A094: D86C90C0 D5000015
	ds_read_b32 v216, v21 offset:39168                         // 00000000A09C: D86C9900 D8000015
	ds_read_b32 v217, v21 offset:39232                         // 00000000A0A4: D86C9940 D9000015
	ds_read_b32 v220, v21 offset:41344                         // 00000000A0AC: D86CA180 DC000015
	ds_read_b32 v221, v21 offset:41408                         // 00000000A0B4: D86CA1C0 DD000015
	s_mul_i32 s60, s65, 4                                      // 00000000A0BC: 923C8441
	s_add_u32 s8, s60, s8                                      // 00000000A0C0: 8008083C
	s_addc_u32 s9, 0, s9                                       // 00000000A0C4: 82090980
	s_waitcnt lgkmcnt(0)                                       // 00000000A0C8: BF8CC07F
	v_mov_b32_e32 v7, 0                                        // 00000000A0CC: 7E0E0280
	s_mov_b64 exec, s[36:37]                                   // 00000000A0D0: BEFE0124
	v_mov_b32_e32 v6, v50                                      // 00000000A0D4: 7E0C0332
	s_mov_b64 s[60:61], 0                                      // 00000000A0D8: BEBC0180
	v_readlane_b32 s82, v3, 0                                  // 00000000A0DC: D2890052 00010103
	s_and_b32 s82, s82, 0xffffff                               // 00000000A0E4: 8652FF52 00FFFFFF
	s_cmp_lt_u32 s82, s66                                      // 00000000A0EC: BF0A4252
	s_cselect_b32 s20, s36, s60                                // 00000000A0F0: 85143C24
	v_readlane_b32 s82, v3, 1                                  // 00000000A0F4: D2890052 00010303
	s_and_b32 s82, s82, 0xffffff                               // 00000000A0FC: 8652FF52 00FFFFFF
	s_cmp_lt_u32 s82, s66                                      // 00000000A104: BF0A4252
	s_cselect_b32 s21, s36, s60                                // 00000000A108: 85153C24
	s_mov_b64 exec, s[20:21]                                   // 00000000A10C: BEFE0114
	global_atomic_add_f32 v6, v144, s[8:9]                     // 00000000A110: DD348000 00089006
	global_atomic_add_f32 v6, v148, s[8:9] offset:256          // 00000000A118: DD348100 00089406
	global_atomic_add_f32 v6, v152, s[8:9] offset:512          // 00000000A120: DD348200 00089806
	global_atomic_add_f32 v6, v156, s[8:9] offset:768          // 00000000A128: DD348300 00089C06
	s_mov_b64 exec, s[36:37]                                   // 00000000A130: BEFE0124
	v_mov_b32_e32 v6, v51                                      // 00000000A134: 7E0C0333
	s_mov_b64 s[60:61], 0                                      // 00000000A138: BEBC0180
	v_readlane_b32 s82, v3, 2                                  // 00000000A13C: D2890052 00010503
	s_and_b32 s82, s82, 0xffffff                               // 00000000A144: 8652FF52 00FFFFFF
	s_cmp_lt_u32 s82, s66                                      // 00000000A14C: BF0A4252
	s_cselect_b32 s20, s36, s60                                // 00000000A150: 85143C24
	v_readlane_b32 s82, v3, 3                                  // 00000000A154: D2890052 00010703
	s_and_b32 s82, s82, 0xffffff                               // 00000000A15C: 8652FF52 00FFFFFF
	s_cmp_lt_u32 s82, s66                                      // 00000000A164: BF0A4252
	s_cselect_b32 s21, s36, s60                                // 00000000A168: 85153C24
	s_mov_b64 exec, s[20:21]                                   // 00000000A16C: BEFE0114
	global_atomic_add_f32 v6, v145, s[8:9]                     // 00000000A170: DD348000 00089106
	global_atomic_add_f32 v6, v149, s[8:9] offset:256          // 00000000A178: DD348100 00089506
	global_atomic_add_f32 v6, v153, s[8:9] offset:512          // 00000000A180: DD348200 00089906
	global_atomic_add_f32 v6, v157, s[8:9] offset:768          // 00000000A188: DD348300 00089D06
	s_mov_b64 exec, s[36:37]                                   // 00000000A190: BEFE0124
	v_mov_b32_e32 v6, v52                                      // 00000000A194: 7E0C0334
	s_mov_b64 s[60:61], 0                                      // 00000000A198: BEBC0180
	v_readlane_b32 s82, v3, 4                                  // 00000000A19C: D2890052 00010903
	s_and_b32 s82, s82, 0xffffff                               // 00000000A1A4: 8652FF52 00FFFFFF
	s_cmp_lt_u32 s82, s66                                      // 00000000A1AC: BF0A4252
	s_cselect_b32 s20, s36, s60                                // 00000000A1B0: 85143C24
	v_readlane_b32 s82, v3, 5                                  // 00000000A1B4: D2890052 00010B03
	s_and_b32 s82, s82, 0xffffff                               // 00000000A1BC: 8652FF52 00FFFFFF
	s_cmp_lt_u32 s82, s66                                      // 00000000A1C4: BF0A4252
	s_cselect_b32 s21, s36, s60                                // 00000000A1C8: 85153C24
	s_mov_b64 exec, s[20:21]                                   // 00000000A1CC: BEFE0114
	global_atomic_add_f32 v6, v160, s[8:9]                     // 00000000A1D0: DD348000 0008A006
	global_atomic_add_f32 v6, v164, s[8:9] offset:256          // 00000000A1D8: DD348100 0008A406
	global_atomic_add_f32 v6, v168, s[8:9] offset:512          // 00000000A1E0: DD348200 0008A806
	global_atomic_add_f32 v6, v172, s[8:9] offset:768          // 00000000A1E8: DD348300 0008AC06
	s_mov_b64 exec, s[36:37]                                   // 00000000A1F0: BEFE0124
	v_mov_b32_e32 v6, v53                                      // 00000000A1F4: 7E0C0335
	s_mov_b64 s[60:61], 0                                      // 00000000A1F8: BEBC0180
	v_readlane_b32 s82, v3, 6                                  // 00000000A1FC: D2890052 00010D03
	s_and_b32 s82, s82, 0xffffff                               // 00000000A204: 8652FF52 00FFFFFF
	s_cmp_lt_u32 s82, s66                                      // 00000000A20C: BF0A4252
	s_cselect_b32 s20, s36, s60                                // 00000000A210: 85143C24
	v_readlane_b32 s82, v3, 7                                  // 00000000A214: D2890052 00010F03
	s_and_b32 s82, s82, 0xffffff                               // 00000000A21C: 8652FF52 00FFFFFF
	s_cmp_lt_u32 s82, s66                                      // 00000000A224: BF0A4252
	s_cselect_b32 s21, s36, s60                                // 00000000A228: 85153C24
	s_mov_b64 exec, s[20:21]                                   // 00000000A22C: BEFE0114
	global_atomic_add_f32 v6, v161, s[8:9]                     // 00000000A230: DD348000 0008A106
	global_atomic_add_f32 v6, v165, s[8:9] offset:256          // 00000000A238: DD348100 0008A506
	global_atomic_add_f32 v6, v169, s[8:9] offset:512          // 00000000A240: DD348200 0008A906
	global_atomic_add_f32 v6, v173, s[8:9] offset:768          // 00000000A248: DD348300 0008AD06
	s_mov_b64 exec, s[36:37]                                   // 00000000A250: BEFE0124
	v_mov_b32_e32 v6, v54                                      // 00000000A254: 7E0C0336
	s_mov_b64 s[60:61], 0                                      // 00000000A258: BEBC0180
	v_readlane_b32 s82, v3, 8                                  // 00000000A25C: D2890052 00011103
	s_and_b32 s82, s82, 0xffffff                               // 00000000A264: 8652FF52 00FFFFFF
	s_cmp_lt_u32 s82, s66                                      // 00000000A26C: BF0A4252
	s_cselect_b32 s20, s36, s60                                // 00000000A270: 85143C24
	v_readlane_b32 s82, v3, 9                                  // 00000000A274: D2890052 00011303
	s_and_b32 s82, s82, 0xffffff                               // 00000000A27C: 8652FF52 00FFFFFF
	s_cmp_lt_u32 s82, s66                                      // 00000000A284: BF0A4252
	s_cselect_b32 s21, s36, s60                                // 00000000A288: 85153C24
	s_mov_b64 exec, s[20:21]                                   // 00000000A28C: BEFE0114
	global_atomic_add_f32 v6, v176, s[8:9]                     // 00000000A290: DD348000 0008B006
	global_atomic_add_f32 v6, v180, s[8:9] offset:256          // 00000000A298: DD348100 0008B406
	global_atomic_add_f32 v6, v184, s[8:9] offset:512          // 00000000A2A0: DD348200 0008B806
	global_atomic_add_f32 v6, v188, s[8:9] offset:768          // 00000000A2A8: DD348300 0008BC06
	s_mov_b64 exec, s[36:37]                                   // 00000000A2B0: BEFE0124
	v_mov_b32_e32 v6, v55                                      // 00000000A2B4: 7E0C0337
	s_mov_b64 s[60:61], 0                                      // 00000000A2B8: BEBC0180
	v_readlane_b32 s82, v3, 10                                 // 00000000A2BC: D2890052 00011503
	s_and_b32 s82, s82, 0xffffff                               // 00000000A2C4: 8652FF52 00FFFFFF
	s_cmp_lt_u32 s82, s66                                      // 00000000A2CC: BF0A4252
	s_cselect_b32 s20, s36, s60                                // 00000000A2D0: 85143C24
	v_readlane_b32 s82, v3, 11                                 // 00000000A2D4: D2890052 00011703
	s_and_b32 s82, s82, 0xffffff                               // 00000000A2DC: 8652FF52 00FFFFFF
	s_cmp_lt_u32 s82, s66                                      // 00000000A2E4: BF0A4252
	s_cselect_b32 s21, s36, s60                                // 00000000A2E8: 85153C24
	s_mov_b64 exec, s[20:21]                                   // 00000000A2EC: BEFE0114
	global_atomic_add_f32 v6, v177, s[8:9]                     // 00000000A2F0: DD348000 0008B106
	global_atomic_add_f32 v6, v181, s[8:9] offset:256          // 00000000A2F8: DD348100 0008B506
	global_atomic_add_f32 v6, v185, s[8:9] offset:512          // 00000000A300: DD348200 0008B906
	global_atomic_add_f32 v6, v189, s[8:9] offset:768          // 00000000A308: DD348300 0008BD06
	s_mov_b64 exec, s[36:37]                                   // 00000000A310: BEFE0124
	v_mov_b32_e32 v6, v56                                      // 00000000A314: 7E0C0338
	s_mov_b64 s[60:61], 0                                      // 00000000A318: BEBC0180
	v_readlane_b32 s82, v3, 12                                 // 00000000A31C: D2890052 00011903
	s_and_b32 s82, s82, 0xffffff                               // 00000000A324: 8652FF52 00FFFFFF
	s_cmp_lt_u32 s82, s66                                      // 00000000A32C: BF0A4252
	s_cselect_b32 s20, s36, s60                                // 00000000A330: 85143C24
	v_readlane_b32 s82, v3, 13                                 // 00000000A334: D2890052 00011B03
	s_and_b32 s82, s82, 0xffffff                               // 00000000A33C: 8652FF52 00FFFFFF
	s_cmp_lt_u32 s82, s66                                      // 00000000A344: BF0A4252
	s_cselect_b32 s21, s36, s60                                // 00000000A348: 85153C24
	s_mov_b64 exec, s[20:21]                                   // 00000000A34C: BEFE0114
	global_atomic_add_f32 v6, v192, s[8:9]                     // 00000000A350: DD348000 0008C006
	global_atomic_add_f32 v6, v196, s[8:9] offset:256          // 00000000A358: DD348100 0008C406
	global_atomic_add_f32 v6, v200, s[8:9] offset:512          // 00000000A360: DD348200 0008C806
	global_atomic_add_f32 v6, v204, s[8:9] offset:768          // 00000000A368: DD348300 0008CC06
	s_mov_b64 exec, s[36:37]                                   // 00000000A370: BEFE0124
	v_mov_b32_e32 v6, v57                                      // 00000000A374: 7E0C0339
	s_mov_b64 s[60:61], 0                                      // 00000000A378: BEBC0180
	v_readlane_b32 s82, v3, 14                                 // 00000000A37C: D2890052 00011D03
	s_and_b32 s82, s82, 0xffffff                               // 00000000A384: 8652FF52 00FFFFFF
	s_cmp_lt_u32 s82, s66                                      // 00000000A38C: BF0A4252
	s_cselect_b32 s20, s36, s60                                // 00000000A390: 85143C24
	v_readlane_b32 s82, v3, 15                                 // 00000000A394: D2890052 00011F03
	s_and_b32 s82, s82, 0xffffff                               // 00000000A39C: 8652FF52 00FFFFFF
	s_cmp_lt_u32 s82, s66                                      // 00000000A3A4: BF0A4252
	s_cselect_b32 s21, s36, s60                                // 00000000A3A8: 85153C24
	s_mov_b64 exec, s[20:21]                                   // 00000000A3AC: BEFE0114
	global_atomic_add_f32 v6, v193, s[8:9]                     // 00000000A3B0: DD348000 0008C106
	global_atomic_add_f32 v6, v197, s[8:9] offset:256          // 00000000A3B8: DD348100 0008C506
	global_atomic_add_f32 v6, v201, s[8:9] offset:512          // 00000000A3C0: DD348200 0008C906
	global_atomic_add_f32 v6, v205, s[8:9] offset:768          // 00000000A3C8: DD348300 0008CD06
	s_mov_b64 exec, s[36:37]                                   // 00000000A3D0: BEFE0124
	v_mov_b32_e32 v6, v58                                      // 00000000A3D4: 7E0C033A
	s_mov_b64 s[60:61], 0                                      // 00000000A3D8: BEBC0180
	v_readlane_b32 s82, v3, 16                                 // 00000000A3DC: D2890052 00012103
	s_and_b32 s82, s82, 0xffffff                               // 00000000A3E4: 8652FF52 00FFFFFF
	s_cmp_lt_u32 s82, s66                                      // 00000000A3EC: BF0A4252
	s_cselect_b32 s20, s36, s60                                // 00000000A3F0: 85143C24
	v_readlane_b32 s82, v3, 17                                 // 00000000A3F4: D2890052 00012303
	s_and_b32 s82, s82, 0xffffff                               // 00000000A3FC: 8652FF52 00FFFFFF
	s_cmp_lt_u32 s82, s66                                      // 00000000A404: BF0A4252
	s_cselect_b32 s21, s36, s60                                // 00000000A408: 85153C24
	s_mov_b64 exec, s[20:21]                                   // 00000000A40C: BEFE0114
	global_atomic_add_f32 v6, v208, s[8:9]                     // 00000000A410: DD348000 0008D006
	global_atomic_add_f32 v6, v212, s[8:9] offset:256          // 00000000A418: DD348100 0008D406
	global_atomic_add_f32 v6, v216, s[8:9] offset:512          // 00000000A420: DD348200 0008D806
	global_atomic_add_f32 v6, v220, s[8:9] offset:768          // 00000000A428: DD348300 0008DC06
	s_mov_b64 exec, s[36:37]                                   // 00000000A430: BEFE0124
	v_mov_b32_e32 v6, v59                                      // 00000000A434: 7E0C033B
	s_mov_b64 s[60:61], 0                                      // 00000000A438: BEBC0180
	v_readlane_b32 s82, v3, 18                                 // 00000000A43C: D2890052 00012503
	s_and_b32 s82, s82, 0xffffff                               // 00000000A444: 8652FF52 00FFFFFF
	s_cmp_lt_u32 s82, s66                                      // 00000000A44C: BF0A4252
	s_cselect_b32 s20, s36, s60                                // 00000000A450: 85143C24
	v_readlane_b32 s82, v3, 19                                 // 00000000A454: D2890052 00012703
	s_and_b32 s82, s82, 0xffffff                               // 00000000A45C: 8652FF52 00FFFFFF
	s_cmp_lt_u32 s82, s66                                      // 00000000A464: BF0A4252
	s_cselect_b32 s21, s36, s60                                // 00000000A468: 85153C24
	s_mov_b64 exec, s[20:21]                                   // 00000000A46C: BEFE0114
	global_atomic_add_f32 v6, v209, s[8:9]                     // 00000000A470: DD348000 0008D106
	global_atomic_add_f32 v6, v213, s[8:9] offset:256          // 00000000A478: DD348100 0008D506
	global_atomic_add_f32 v6, v217, s[8:9] offset:512          // 00000000A480: DD348200 0008D906
	global_atomic_add_f32 v6, v221, s[8:9] offset:768          // 00000000A488: DD348300 0008DD06
	s_mov_b64 exec, s[36:37]                                   // 00000000A490: BEFE0124
	ds_write_b64 v20, v[146:147]                               // 00000000A494: D89A0000 00009214
	ds_write_b64 v20, v[150:151] offset:8704                   // 00000000A49C: D89A2200 00009614
	ds_write_b64 v20, v[154:155] offset:17408                  // 00000000A4A4: D89A4400 00009A14
	ds_write_b64 v20, v[158:159] offset:26112                  // 00000000A4AC: D89A6600 00009E14
	ds_write_b64 v20, v[162:163] offset:34816                  // 00000000A4B4: D89A8800 0000A214
	ds_write_b64 v20, v[166:167] offset:2176                   // 00000000A4BC: D89A0880 0000A614
	ds_write_b64 v20, v[170:171] offset:10880                  // 00000000A4C4: D89A2A80 0000AA14
	ds_write_b64 v20, v[174:175] offset:19584                  // 00000000A4CC: D89A4C80 0000AE14
	ds_write_b64 v20, v[178:179] offset:28288                  // 00000000A4D4: D89A6E80 0000B214
	ds_write_b64 v20, v[182:183] offset:36992                  // 00000000A4DC: D89A9080 0000B614
	ds_write_b64 v20, v[186:187] offset:4352                   // 00000000A4E4: D89A1100 0000BA14
	ds_write_b64 v20, v[190:191] offset:13056                  // 00000000A4EC: D89A3300 0000BE14
	ds_write_b64 v20, v[194:195] offset:21760                  // 00000000A4F4: D89A5500 0000C214
	ds_write_b64 v20, v[198:199] offset:30464                  // 00000000A4FC: D89A7700 0000C614
	ds_write_b64 v20, v[202:203] offset:39168                  // 00000000A504: D89A9900 0000CA14
	ds_write_b64 v20, v[206:207] offset:6528                   // 00000000A50C: D89A1980 0000CE14
	ds_write_b64 v20, v[210:211] offset:15232                  // 00000000A514: D89A3B80 0000D214
	ds_write_b64 v20, v[214:215] offset:23936                  // 00000000A51C: D89A5D80 0000D614
	ds_write_b64 v20, v[218:219] offset:32640                  // 00000000A524: D89A7F80 0000DA14
	ds_write_b64 v20, v[222:223] offset:41344                  // 00000000A52C: D89AA180 0000DE14
	s_waitcnt lgkmcnt(0)                                       // 00000000A534: BF8CC07F
	s_barrier                                                  // 00000000A538: BF8A0000
	ds_read_b32 v146, v21                                      // 00000000A53C: D86C0000 92000015
	ds_read_b32 v147, v21 offset:64                            // 00000000A544: D86C0040 93000015
	ds_read_b32 v150, v21 offset:2176                          // 00000000A54C: D86C0880 96000015
	ds_read_b32 v151, v21 offset:2240                          // 00000000A554: D86C08C0 97000015
	ds_read_b32 v154, v21 offset:4352                          // 00000000A55C: D86C1100 9A000015
	ds_read_b32 v155, v21 offset:4416                          // 00000000A564: D86C1140 9B000015
	ds_read_b32 v158, v21 offset:6528                          // 00000000A56C: D86C1980 9E000015
	ds_read_b32 v159, v21 offset:6592                          // 00000000A574: D86C19C0 9F000015
	ds_read_b32 v162, v21 offset:8704                          // 00000000A57C: D86C2200 A2000015
	ds_read_b32 v163, v21 offset:8768                          // 00000000A584: D86C2240 A3000015
	ds_read_b32 v166, v21 offset:10880                         // 00000000A58C: D86C2A80 A6000015
	ds_read_b32 v167, v21 offset:10944                         // 00000000A594: D86C2AC0 A7000015
	ds_read_b32 v170, v21 offset:13056                         // 00000000A59C: D86C3300 AA000015
	ds_read_b32 v171, v21 offset:13120                         // 00000000A5A4: D86C3340 AB000015
	ds_read_b32 v174, v21 offset:15232                         // 00000000A5AC: D86C3B80 AE000015
	ds_read_b32 v175, v21 offset:15296                         // 00000000A5B4: D86C3BC0 AF000015
	ds_read_b32 v178, v21 offset:17408                         // 00000000A5BC: D86C4400 B2000015
	ds_read_b32 v179, v21 offset:17472                         // 00000000A5C4: D86C4440 B3000015
	ds_read_b32 v182, v21 offset:19584                         // 00000000A5CC: D86C4C80 B6000015
	ds_read_b32 v183, v21 offset:19648                         // 00000000A5D4: D86C4CC0 B7000015
	ds_read_b32 v186, v21 offset:21760                         // 00000000A5DC: D86C5500 BA000015
	ds_read_b32 v187, v21 offset:21824                         // 00000000A5E4: D86C5540 BB000015
	ds_read_b32 v190, v21 offset:23936                         // 00000000A5EC: D86C5D80 BE000015
	ds_read_b32 v191, v21 offset:24000                         // 00000000A5F4: D86C5DC0 BF000015
	ds_read_b32 v194, v21 offset:26112                         // 00000000A5FC: D86C6600 C2000015
	ds_read_b32 v195, v21 offset:26176                         // 00000000A604: D86C6640 C3000015
	ds_read_b32 v198, v21 offset:28288                         // 00000000A60C: D86C6E80 C6000015
	ds_read_b32 v199, v21 offset:28352                         // 00000000A614: D86C6EC0 C7000015
	ds_read_b32 v202, v21 offset:30464                         // 00000000A61C: D86C7700 CA000015
	ds_read_b32 v203, v21 offset:30528                         // 00000000A624: D86C7740 CB000015
	ds_read_b32 v206, v21 offset:32640                         // 00000000A62C: D86C7F80 CE000015
	ds_read_b32 v207, v21 offset:32704                         // 00000000A634: D86C7FC0 CF000015
	ds_read_b32 v210, v21 offset:34816                         // 00000000A63C: D86C8800 D2000015
	ds_read_b32 v211, v21 offset:34880                         // 00000000A644: D86C8840 D3000015
	ds_read_b32 v214, v21 offset:36992                         // 00000000A64C: D86C9080 D6000015
	ds_read_b32 v215, v21 offset:37056                         // 00000000A654: D86C90C0 D7000015
	ds_read_b32 v218, v21 offset:39168                         // 00000000A65C: D86C9900 DA000015
	ds_read_b32 v219, v21 offset:39232                         // 00000000A664: D86C9940 DB000015
	ds_read_b32 v222, v21 offset:41344                         // 00000000A66C: D86CA180 DE000015
	ds_read_b32 v223, v21 offset:41408                         // 00000000A674: D86CA1C0 DF000015
	s_waitcnt lgkmcnt(0)                                       // 00000000A67C: BF8CC07F
	v_mov_b32_e32 v7, 0                                        // 00000000A680: 7E0E0280
	s_mov_b64 exec, s[36:37]                                   // 00000000A684: BEFE0124
	v_mov_b32_e32 v6, v50                                      // 00000000A688: 7E0C0332
	s_mov_b64 s[60:61], 0                                      // 00000000A68C: BEBC0180
	v_readlane_b32 s82, v3, 0                                  // 00000000A690: D2890052 00010103
	s_and_b32 s82, s82, 0xffffff                               // 00000000A698: 8652FF52 00FFFFFF
	s_cmp_lt_u32 s82, s66                                      // 00000000A6A0: BF0A4252
	s_cselect_b32 s20, s36, s60                                // 00000000A6A4: 85143C24
	v_readlane_b32 s82, v3, 1                                  // 00000000A6A8: D2890052 00010303
	s_and_b32 s82, s82, 0xffffff                               // 00000000A6B0: 8652FF52 00FFFFFF
	s_cmp_lt_u32 s82, s66                                      // 00000000A6B8: BF0A4252
	s_cselect_b32 s21, s36, s60                                // 00000000A6BC: 85153C24
	s_mov_b64 exec, s[20:21]                                   // 00000000A6C0: BEFE0114
	global_atomic_add_f32 v6, v146, s[8:9] offset:8            // 00000000A6C4: DD348008 00089206
	global_atomic_add_f32 v6, v150, s[8:9] offset:264          // 00000000A6CC: DD348108 00089606
	global_atomic_add_f32 v6, v154, s[8:9] offset:520          // 00000000A6D4: DD348208 00089A06
	global_atomic_add_f32 v6, v158, s[8:9] offset:776          // 00000000A6DC: DD348308 00089E06
	s_mov_b64 exec, s[36:37]                                   // 00000000A6E4: BEFE0124
	v_mov_b32_e32 v6, v51                                      // 00000000A6E8: 7E0C0333
	s_mov_b64 s[60:61], 0                                      // 00000000A6EC: BEBC0180
	v_readlane_b32 s82, v3, 2                                  // 00000000A6F0: D2890052 00010503
	s_and_b32 s82, s82, 0xffffff                               // 00000000A6F8: 8652FF52 00FFFFFF
	s_cmp_lt_u32 s82, s66                                      // 00000000A700: BF0A4252
	s_cselect_b32 s20, s36, s60                                // 00000000A704: 85143C24
	v_readlane_b32 s82, v3, 3                                  // 00000000A708: D2890052 00010703
	s_and_b32 s82, s82, 0xffffff                               // 00000000A710: 8652FF52 00FFFFFF
	s_cmp_lt_u32 s82, s66                                      // 00000000A718: BF0A4252
	s_cselect_b32 s21, s36, s60                                // 00000000A71C: 85153C24
	s_mov_b64 exec, s[20:21]                                   // 00000000A720: BEFE0114
	global_atomic_add_f32 v6, v147, s[8:9] offset:8            // 00000000A724: DD348008 00089306
	global_atomic_add_f32 v6, v151, s[8:9] offset:264          // 00000000A72C: DD348108 00089706
	global_atomic_add_f32 v6, v155, s[8:9] offset:520          // 00000000A734: DD348208 00089B06
	global_atomic_add_f32 v6, v159, s[8:9] offset:776          // 00000000A73C: DD348308 00089F06
	s_mov_b64 exec, s[36:37]                                   // 00000000A744: BEFE0124
	v_mov_b32_e32 v6, v52                                      // 00000000A748: 7E0C0334
	s_mov_b64 s[60:61], 0                                      // 00000000A74C: BEBC0180
	v_readlane_b32 s82, v3, 4                                  // 00000000A750: D2890052 00010903
	s_and_b32 s82, s82, 0xffffff                               // 00000000A758: 8652FF52 00FFFFFF
	s_cmp_lt_u32 s82, s66                                      // 00000000A760: BF0A4252
	s_cselect_b32 s20, s36, s60                                // 00000000A764: 85143C24
	v_readlane_b32 s82, v3, 5                                  // 00000000A768: D2890052 00010B03
	s_and_b32 s82, s82, 0xffffff                               // 00000000A770: 8652FF52 00FFFFFF
	s_cmp_lt_u32 s82, s66                                      // 00000000A778: BF0A4252
	s_cselect_b32 s21, s36, s60                                // 00000000A77C: 85153C24
	s_mov_b64 exec, s[20:21]                                   // 00000000A780: BEFE0114
	global_atomic_add_f32 v6, v162, s[8:9] offset:8            // 00000000A784: DD348008 0008A206
	global_atomic_add_f32 v6, v166, s[8:9] offset:264          // 00000000A78C: DD348108 0008A606
	global_atomic_add_f32 v6, v170, s[8:9] offset:520          // 00000000A794: DD348208 0008AA06
	global_atomic_add_f32 v6, v174, s[8:9] offset:776          // 00000000A79C: DD348308 0008AE06
	s_mov_b64 exec, s[36:37]                                   // 00000000A7A4: BEFE0124
	v_mov_b32_e32 v6, v53                                      // 00000000A7A8: 7E0C0335
	s_mov_b64 s[60:61], 0                                      // 00000000A7AC: BEBC0180
	v_readlane_b32 s82, v3, 6                                  // 00000000A7B0: D2890052 00010D03
	s_and_b32 s82, s82, 0xffffff                               // 00000000A7B8: 8652FF52 00FFFFFF
	s_cmp_lt_u32 s82, s66                                      // 00000000A7C0: BF0A4252
	s_cselect_b32 s20, s36, s60                                // 00000000A7C4: 85143C24
	v_readlane_b32 s82, v3, 7                                  // 00000000A7C8: D2890052 00010F03
	s_and_b32 s82, s82, 0xffffff                               // 00000000A7D0: 8652FF52 00FFFFFF
	s_cmp_lt_u32 s82, s66                                      // 00000000A7D8: BF0A4252
	s_cselect_b32 s21, s36, s60                                // 00000000A7DC: 85153C24
	s_mov_b64 exec, s[20:21]                                   // 00000000A7E0: BEFE0114
	global_atomic_add_f32 v6, v163, s[8:9] offset:8            // 00000000A7E4: DD348008 0008A306
	global_atomic_add_f32 v6, v167, s[8:9] offset:264          // 00000000A7EC: DD348108 0008A706
	global_atomic_add_f32 v6, v171, s[8:9] offset:520          // 00000000A7F4: DD348208 0008AB06
	global_atomic_add_f32 v6, v175, s[8:9] offset:776          // 00000000A7FC: DD348308 0008AF06
	s_mov_b64 exec, s[36:37]                                   // 00000000A804: BEFE0124
	v_mov_b32_e32 v6, v54                                      // 00000000A808: 7E0C0336
	s_mov_b64 s[60:61], 0                                      // 00000000A80C: BEBC0180
	v_readlane_b32 s82, v3, 8                                  // 00000000A810: D2890052 00011103
	s_and_b32 s82, s82, 0xffffff                               // 00000000A818: 8652FF52 00FFFFFF
	s_cmp_lt_u32 s82, s66                                      // 00000000A820: BF0A4252
	s_cselect_b32 s20, s36, s60                                // 00000000A824: 85143C24
	v_readlane_b32 s82, v3, 9                                  // 00000000A828: D2890052 00011303
	s_and_b32 s82, s82, 0xffffff                               // 00000000A830: 8652FF52 00FFFFFF
	s_cmp_lt_u32 s82, s66                                      // 00000000A838: BF0A4252
	s_cselect_b32 s21, s36, s60                                // 00000000A83C: 85153C24
	s_mov_b64 exec, s[20:21]                                   // 00000000A840: BEFE0114
	global_atomic_add_f32 v6, v178, s[8:9] offset:8            // 00000000A844: DD348008 0008B206
	global_atomic_add_f32 v6, v182, s[8:9] offset:264          // 00000000A84C: DD348108 0008B606
	global_atomic_add_f32 v6, v186, s[8:9] offset:520          // 00000000A854: DD348208 0008BA06
	global_atomic_add_f32 v6, v190, s[8:9] offset:776          // 00000000A85C: DD348308 0008BE06
	s_mov_b64 exec, s[36:37]                                   // 00000000A864: BEFE0124
	v_mov_b32_e32 v6, v55                                      // 00000000A868: 7E0C0337
	s_mov_b64 s[60:61], 0                                      // 00000000A86C: BEBC0180
	v_readlane_b32 s82, v3, 10                                 // 00000000A870: D2890052 00011503
	s_and_b32 s82, s82, 0xffffff                               // 00000000A878: 8652FF52 00FFFFFF
	s_cmp_lt_u32 s82, s66                                      // 00000000A880: BF0A4252
	s_cselect_b32 s20, s36, s60                                // 00000000A884: 85143C24
	v_readlane_b32 s82, v3, 11                                 // 00000000A888: D2890052 00011703
	s_and_b32 s82, s82, 0xffffff                               // 00000000A890: 8652FF52 00FFFFFF
	s_cmp_lt_u32 s82, s66                                      // 00000000A898: BF0A4252
	s_cselect_b32 s21, s36, s60                                // 00000000A89C: 85153C24
	s_mov_b64 exec, s[20:21]                                   // 00000000A8A0: BEFE0114
	global_atomic_add_f32 v6, v179, s[8:9] offset:8            // 00000000A8A4: DD348008 0008B306
	global_atomic_add_f32 v6, v183, s[8:9] offset:264          // 00000000A8AC: DD348108 0008B706
	global_atomic_add_f32 v6, v187, s[8:9] offset:520          // 00000000A8B4: DD348208 0008BB06
	global_atomic_add_f32 v6, v191, s[8:9] offset:776          // 00000000A8BC: DD348308 0008BF06
	s_mov_b64 exec, s[36:37]                                   // 00000000A8C4: BEFE0124
	v_mov_b32_e32 v6, v56                                      // 00000000A8C8: 7E0C0338
	s_mov_b64 s[60:61], 0                                      // 00000000A8CC: BEBC0180
	v_readlane_b32 s82, v3, 12                                 // 00000000A8D0: D2890052 00011903
	s_and_b32 s82, s82, 0xffffff                               // 00000000A8D8: 8652FF52 00FFFFFF
	s_cmp_lt_u32 s82, s66                                      // 00000000A8E0: BF0A4252
	s_cselect_b32 s20, s36, s60                                // 00000000A8E4: 85143C24
	v_readlane_b32 s82, v3, 13                                 // 00000000A8E8: D2890052 00011B03
	s_and_b32 s82, s82, 0xffffff                               // 00000000A8F0: 8652FF52 00FFFFFF
	s_cmp_lt_u32 s82, s66                                      // 00000000A8F8: BF0A4252
	s_cselect_b32 s21, s36, s60                                // 00000000A8FC: 85153C24
	s_mov_b64 exec, s[20:21]                                   // 00000000A900: BEFE0114
	global_atomic_add_f32 v6, v194, s[8:9] offset:8            // 00000000A904: DD348008 0008C206
	global_atomic_add_f32 v6, v198, s[8:9] offset:264          // 00000000A90C: DD348108 0008C606
	global_atomic_add_f32 v6, v202, s[8:9] offset:520          // 00000000A914: DD348208 0008CA06
	global_atomic_add_f32 v6, v206, s[8:9] offset:776          // 00000000A91C: DD348308 0008CE06
	s_mov_b64 exec, s[36:37]                                   // 00000000A924: BEFE0124
	v_mov_b32_e32 v6, v57                                      // 00000000A928: 7E0C0339
	s_mov_b64 s[60:61], 0                                      // 00000000A92C: BEBC0180
	v_readlane_b32 s82, v3, 14                                 // 00000000A930: D2890052 00011D03
	s_and_b32 s82, s82, 0xffffff                               // 00000000A938: 8652FF52 00FFFFFF
	s_cmp_lt_u32 s82, s66                                      // 00000000A940: BF0A4252
	s_cselect_b32 s20, s36, s60                                // 00000000A944: 85143C24
	v_readlane_b32 s82, v3, 15                                 // 00000000A948: D2890052 00011F03
	s_and_b32 s82, s82, 0xffffff                               // 00000000A950: 8652FF52 00FFFFFF
	s_cmp_lt_u32 s82, s66                                      // 00000000A958: BF0A4252
	s_cselect_b32 s21, s36, s60                                // 00000000A95C: 85153C24
	s_mov_b64 exec, s[20:21]                                   // 00000000A960: BEFE0114
	global_atomic_add_f32 v6, v195, s[8:9] offset:8            // 00000000A964: DD348008 0008C306
	global_atomic_add_f32 v6, v199, s[8:9] offset:264          // 00000000A96C: DD348108 0008C706
	global_atomic_add_f32 v6, v203, s[8:9] offset:520          // 00000000A974: DD348208 0008CB06
	global_atomic_add_f32 v6, v207, s[8:9] offset:776          // 00000000A97C: DD348308 0008CF06
	s_mov_b64 exec, s[36:37]                                   // 00000000A984: BEFE0124
	v_mov_b32_e32 v6, v58                                      // 00000000A988: 7E0C033A
	s_mov_b64 s[60:61], 0                                      // 00000000A98C: BEBC0180
	v_readlane_b32 s82, v3, 16                                 // 00000000A990: D2890052 00012103
	s_and_b32 s82, s82, 0xffffff                               // 00000000A998: 8652FF52 00FFFFFF
	s_cmp_lt_u32 s82, s66                                      // 00000000A9A0: BF0A4252
	s_cselect_b32 s20, s36, s60                                // 00000000A9A4: 85143C24
	v_readlane_b32 s82, v3, 17                                 // 00000000A9A8: D2890052 00012303
	s_and_b32 s82, s82, 0xffffff                               // 00000000A9B0: 8652FF52 00FFFFFF
	s_cmp_lt_u32 s82, s66                                      // 00000000A9B8: BF0A4252
	s_cselect_b32 s21, s36, s60                                // 00000000A9BC: 85153C24
	s_mov_b64 exec, s[20:21]                                   // 00000000A9C0: BEFE0114
	global_atomic_add_f32 v6, v210, s[8:9] offset:8            // 00000000A9C4: DD348008 0008D206
	global_atomic_add_f32 v6, v214, s[8:9] offset:264          // 00000000A9CC: DD348108 0008D606
	global_atomic_add_f32 v6, v218, s[8:9] offset:520          // 00000000A9D4: DD348208 0008DA06
	global_atomic_add_f32 v6, v222, s[8:9] offset:776          // 00000000A9DC: DD348308 0008DE06
	s_mov_b64 exec, s[36:37]                                   // 00000000A9E4: BEFE0124
	v_mov_b32_e32 v6, v59                                      // 00000000A9E8: 7E0C033B
	s_mov_b64 s[60:61], 0                                      // 00000000A9EC: BEBC0180
	v_readlane_b32 s82, v3, 18                                 // 00000000A9F0: D2890052 00012503
	s_and_b32 s82, s82, 0xffffff                               // 00000000A9F8: 8652FF52 00FFFFFF
	s_cmp_lt_u32 s82, s66                                      // 00000000AA00: BF0A4252
	s_cselect_b32 s20, s36, s60                                // 00000000AA04: 85143C24
	v_readlane_b32 s82, v3, 19                                 // 00000000AA08: D2890052 00012703
	s_and_b32 s82, s82, 0xffffff                               // 00000000AA10: 8652FF52 00FFFFFF
	s_cmp_lt_u32 s82, s66                                      // 00000000AA18: BF0A4252
	s_cselect_b32 s21, s36, s60                                // 00000000AA1C: 85153C24
	s_mov_b64 exec, s[20:21]                                   // 00000000AA20: BEFE0114
	global_atomic_add_f32 v6, v211, s[8:9] offset:8            // 00000000AA24: DD348008 0008D306
	global_atomic_add_f32 v6, v215, s[8:9] offset:264          // 00000000AA2C: DD348108 0008D706
	global_atomic_add_f32 v6, v219, s[8:9] offset:520          // 00000000AA34: DD348208 0008DB06
	global_atomic_add_f32 v6, v223, s[8:9] offset:776          // 00000000AA3C: DD348308 0008DF06
	s_mov_b64 exec, s[36:37]                                   // 00000000AA44: BEFE0124
	s_branch label_3D10                                        // 00000000AA48: BF821CFA

000000000000aa4c <label_2016>:
	s_waitcnt vmcnt(18) lgkmcnt(0)                             // 00000000AA4C: BF8C4072
	v_mfma_f32_16x16x32_fp8_fp8 v[64:67], a[80:81], a[0:1], v[64:67]// 00000000AA50: D3F30040 1D020150
	buffer_load_dwordx4 a[144:147], v60, s[24:27], 0 offen     // 00000000AA58: E05C1000 8086903C
	v_mfma_f32_16x16x32_fp8_fp8 v[64:67], a[82:83], a[2:3], v[64:67]// 00000000AA60: D3F30040 1D020552
	v_mfma_f32_16x16x32_fp8_fp8 v[64:67], a[84:85], a[4:5], v[64:67]// 00000000AA68: D3F30040 1D020954
	v_mfma_f32_16x16x32_fp8_fp8 v[64:67], a[86:87], a[6:7], v[64:67]// 00000000AA70: D3F30040 1D020D56
	v_mfma_f32_16x16x32_fp8_fp8 v[84:87], a[88:89], a[0:1], v[84:87]// 00000000AA78: D3F30054 1D520158
	buffer_load_dwordx4 a[148:151], v60, s[24:27], 0 offen offset:1024// 00000000AA80: E05C1400 8086943C
	v_mfma_f32_16x16x32_fp8_fp8 v[84:87], a[90:91], a[2:3], v[84:87]// 00000000AA88: D3F30054 1D52055A
	v_mfma_f32_16x16x32_fp8_fp8 v[84:87], a[92:93], a[4:5], v[84:87]// 00000000AA90: D3F30054 1D52095C
	v_mfma_f32_16x16x32_fp8_fp8 v[84:87], a[94:95], a[6:7], v[84:87]// 00000000AA98: D3F30054 1D520D5E
	v_mfma_f32_16x16x32_fp8_fp8 v[104:107], a[96:97], a[0:1], v[104:107]// 00000000AAA0: D3F30068 1DA20160
	buffer_load_dwordx4 a[152:155], v61, s[24:27], 0 offen     // 00000000AAA8: E05C1000 8086983D
	v_mfma_f32_16x16x32_fp8_fp8 v[104:107], a[98:99], a[2:3], v[104:107]// 00000000AAB0: D3F30068 1DA20562
	v_mfma_f32_16x16x32_fp8_fp8 v[104:107], a[100:101], a[4:5], v[104:107]// 00000000AAB8: D3F30068 1DA20964
	v_mfma_f32_16x16x32_fp8_fp8 v[104:107], a[102:103], a[6:7], v[104:107]// 00000000AAC0: D3F30068 1DA20D66
	v_mfma_f32_16x16x32_fp8_fp8 v[124:127], a[104:105], a[0:1], v[124:127]// 00000000AAC8: D3F3007C 1DF20168
	buffer_load_dwordx4 a[156:159], v61, s[24:27], 0 offen offset:1024// 00000000AAD0: E05C1400 80869C3D
	v_mfma_f32_16x16x32_fp8_fp8 v[124:127], a[106:107], a[2:3], v[124:127]// 00000000AAD8: D3F3007C 1DF2056A
	v_mfma_f32_16x16x32_fp8_fp8 v[124:127], a[108:109], a[4:5], v[124:127]// 00000000AAE0: D3F3007C 1DF2096C
	v_mfma_f32_16x16x32_fp8_fp8 v[124:127], a[110:111], a[6:7], v[124:127]// 00000000AAE8: D3F3007C 1DF20D6E
	v_mfma_f32_16x16x32_fp8_fp8 v[68:71], a[80:81], a[8:9], v[68:71]// 00000000AAF0: D3F30044 1D121150
	buffer_load_dwordx4 a[160:163], v62, s[24:27], 0 offen     // 00000000AAF8: E05C1000 8086A03E
	v_mfma_f32_16x16x32_fp8_fp8 v[68:71], a[82:83], a[10:11], v[68:71]// 00000000AB00: D3F30044 1D121552
	v_mfma_f32_16x16x32_fp8_fp8 v[68:71], a[84:85], a[12:13], v[68:71]// 00000000AB08: D3F30044 1D121954
	v_mfma_f32_16x16x32_fp8_fp8 v[68:71], a[86:87], a[14:15], v[68:71]// 00000000AB10: D3F30044 1D121D56
	v_mfma_f32_16x16x32_fp8_fp8 v[88:91], a[88:89], a[8:9], v[88:91]// 00000000AB18: D3F30058 1D621158
	buffer_load_dwordx4 a[164:167], v62, s[24:27], 0 offen offset:1024// 00000000AB20: E05C1400 8086A43E
	v_mfma_f32_16x16x32_fp8_fp8 v[88:91], a[90:91], a[10:11], v[88:91]// 00000000AB28: D3F30058 1D62155A
	v_mfma_f32_16x16x32_fp8_fp8 v[88:91], a[92:93], a[12:13], v[88:91]// 00000000AB30: D3F30058 1D62195C
	v_mfma_f32_16x16x32_fp8_fp8 v[88:91], a[94:95], a[14:15], v[88:91]// 00000000AB38: D3F30058 1D621D5E
	v_mfma_f32_16x16x32_fp8_fp8 v[108:111], a[96:97], a[8:9], v[108:111]// 00000000AB40: D3F3006C 1DB21160
	buffer_load_dwordx4 a[168:171], v63, s[24:27], 0 offen     // 00000000AB48: E05C1000 8086A83F
	v_mfma_f32_16x16x32_fp8_fp8 v[108:111], a[98:99], a[10:11], v[108:111]// 00000000AB50: D3F3006C 1DB21562
	v_mfma_f32_16x16x32_fp8_fp8 v[108:111], a[100:101], a[12:13], v[108:111]// 00000000AB58: D3F3006C 1DB21964
	v_mfma_f32_16x16x32_fp8_fp8 v[108:111], a[102:103], a[14:15], v[108:111]// 00000000AB60: D3F3006C 1DB21D66
	v_mfma_f32_16x16x32_fp8_fp8 v[128:131], a[104:105], a[8:9], v[128:131]// 00000000AB68: D3F30080 1E021168
	buffer_load_dwordx4 a[172:175], v63, s[24:27], 0 offen offset:1024// 00000000AB70: E05C1400 8086AC3F
	buffer_load_dword v50, s[20:23], 0 offen lds               // 00000000AB78: E0511000 80050032
	s_add_u32 m0, 0x100, s50                                   // 00000000AB80: 807C32FF 00000100
	v_mfma_f32_16x16x32_fp8_fp8 v[128:131], a[106:107], a[10:11], v[128:131]// 00000000AB88: D3F30080 1E02156A
	v_mfma_f32_16x16x32_fp8_fp8 v[128:131], a[108:109], a[12:13], v[128:131]// 00000000AB90: D3F30080 1E02196C
	buffer_load_dword v51, s[20:23], 0 offen lds               // 00000000AB98: E0511000 80050033
	s_add_u32 m0, 0x200, s50                                   // 00000000ABA0: 807C32FF 00000200
	v_mfma_f32_16x16x32_fp8_fp8 v[128:131], a[110:111], a[14:15], v[128:131]// 00000000ABA8: D3F30080 1E021D6E
	v_mfma_f32_16x16x32_fp8_fp8 v[72:75], a[80:81], a[16:17], v[72:75]// 00000000ABB0: D3F30048 1D222150
	buffer_load_dword v52, s[20:23], 0 offen lds               // 00000000ABB8: E0511000 80050034
	s_add_u32 m0, 0x300, s50                                   // 00000000ABC0: 807C32FF 00000300
	v_mfma_f32_16x16x32_fp8_fp8 v[72:75], a[82:83], a[18:19], v[72:75]// 00000000ABC8: D3F30048 1D222552
	v_mfma_f32_16x16x32_fp8_fp8 v[72:75], a[84:85], a[20:21], v[72:75]// 00000000ABD0: D3F30048 1D222954
	buffer_load_dword v53, s[20:23], 0 offen lds               // 00000000ABD8: E0511000 80050035
	s_add_u32 m0, 0x400, s50                                   // 00000000ABE0: 807C32FF 00000400
	v_mfma_f32_16x16x32_fp8_fp8 v[72:75], a[86:87], a[22:23], v[72:75]// 00000000ABE8: D3F30048 1D222D56
	v_mfma_f32_16x16x32_fp8_fp8 v[92:95], a[88:89], a[16:17], v[92:95]// 00000000ABF0: D3F3005C 1D722158
	buffer_load_dword v54, s[20:23], 0 offen lds               // 00000000ABF8: E0511000 80050036
	s_add_u32 m0, 0x500, s50                                   // 00000000AC00: 807C32FF 00000500
	v_mfma_f32_16x16x32_fp8_fp8 v[92:95], a[90:91], a[18:19], v[92:95]// 00000000AC08: D3F3005C 1D72255A
	v_mfma_f32_16x16x32_fp8_fp8 v[92:95], a[92:93], a[20:21], v[92:95]// 00000000AC10: D3F3005C 1D72295C
	buffer_load_dword v55, s[20:23], 0 offen lds               // 00000000AC18: E0511000 80050037
	s_add_u32 m0, 0x600, s50                                   // 00000000AC20: 807C32FF 00000600
	v_mfma_f32_16x16x32_fp8_fp8 v[92:95], a[94:95], a[22:23], v[92:95]// 00000000AC28: D3F3005C 1D722D5E
	v_mfma_f32_16x16x32_fp8_fp8 v[112:115], a[96:97], a[16:17], v[112:115]// 00000000AC30: D3F30070 1DC22160
	buffer_load_dword v56, s[20:23], 0 offen lds               // 00000000AC38: E0511000 80050038
	s_add_u32 m0, 0x700, s50                                   // 00000000AC40: 807C32FF 00000700
	v_mfma_f32_16x16x32_fp8_fp8 v[112:115], a[98:99], a[18:19], v[112:115]// 00000000AC48: D3F30070 1DC22562
	v_mfma_f32_16x16x32_fp8_fp8 v[112:115], a[100:101], a[20:21], v[112:115]// 00000000AC50: D3F30070 1DC22964
	buffer_load_dword v57, s[20:23], 0 offen lds               // 00000000AC58: E0511000 80050039
	s_add_u32 m0, 0x800, s50                                   // 00000000AC60: 807C32FF 00000800
	v_mfma_f32_16x16x32_fp8_fp8 v[112:115], a[102:103], a[22:23], v[112:115]// 00000000AC68: D3F30070 1DC22D66
	v_mfma_f32_16x16x32_fp8_fp8 v[132:135], a[104:105], a[16:17], v[132:135]// 00000000AC70: D3F30084 1E122168
	buffer_load_dword v58, s[20:23], 0 offen lds               // 00000000AC78: E0511000 8005003A
	s_add_u32 m0, 0x900, s50                                   // 00000000AC80: 807C32FF 00000900
	v_mfma_f32_16x16x32_fp8_fp8 v[132:135], a[106:107], a[18:19], v[132:135]// 00000000AC88: D3F30084 1E12256A
	v_mfma_f32_16x16x32_fp8_fp8 v[132:135], a[108:109], a[20:21], v[132:135]// 00000000AC90: D3F30084 1E12296C
	buffer_load_dword v59, s[20:23], 0 offen lds               // 00000000AC98: E0511000 8005003B
	s_add_u32 m0, 0, s48                                       // 00000000ACA0: 807C3080
	v_mfma_f32_16x16x32_fp8_fp8 v[132:135], a[110:111], a[22:23], v[132:135]// 00000000ACA4: D3F30084 1E122D6E
	v_mfma_f32_16x16x32_fp8_fp8 v[76:79], a[80:81], a[24:25], v[76:79]// 00000000ACAC: D3F3004C 1D323150
	v_mfma_f32_16x16x32_fp8_fp8 v[76:79], a[82:83], a[26:27], v[76:79]// 00000000ACB4: D3F3004C 1D323552
	v_mfma_f32_16x16x32_fp8_fp8 v[76:79], a[84:85], a[28:29], v[76:79]// 00000000ACBC: D3F3004C 1D323954
	v_mfma_f32_16x16x32_fp8_fp8 v[76:79], a[86:87], a[30:31], v[76:79]// 00000000ACC4: D3F3004C 1D323D56
	v_mfma_f32_16x16x32_fp8_fp8 v[96:99], a[88:89], a[24:25], v[96:99]// 00000000ACCC: D3F30060 1D823158
	v_mfma_f32_16x16x32_fp8_fp8 v[96:99], a[90:91], a[26:27], v[96:99]// 00000000ACD4: D3F30060 1D82355A
	v_mfma_f32_16x16x32_fp8_fp8 v[96:99], a[92:93], a[28:29], v[96:99]// 00000000ACDC: D3F30060 1D82395C
	v_mfma_f32_16x16x32_fp8_fp8 v[96:99], a[94:95], a[30:31], v[96:99]// 00000000ACE4: D3F30060 1D823D5E
	v_mfma_f32_16x16x32_fp8_fp8 v[116:119], a[96:97], a[24:25], v[116:119]// 00000000ACEC: D3F30074 1DD23160
	v_mfma_f32_16x16x32_fp8_fp8 v[116:119], a[98:99], a[26:27], v[116:119]// 00000000ACF4: D3F30074 1DD23562
	v_mfma_f32_16x16x32_fp8_fp8 v[116:119], a[100:101], a[28:29], v[116:119]// 00000000ACFC: D3F30074 1DD23964
	v_mfma_f32_16x16x32_fp8_fp8 v[116:119], a[102:103], a[30:31], v[116:119]// 00000000AD04: D3F30074 1DD23D66
	v_mfma_f32_16x16x32_fp8_fp8 v[136:139], a[104:105], a[24:25], v[136:139]// 00000000AD0C: D3F30088 1E223168
	v_mfma_f32_16x16x32_fp8_fp8 v[136:139], a[106:107], a[26:27], v[136:139]// 00000000AD14: D3F30088 1E22356A
	v_mfma_f32_16x16x32_fp8_fp8 v[136:139], a[108:109], a[28:29], v[136:139]// 00000000AD1C: D3F30088 1E22396C
	v_mfma_f32_16x16x32_fp8_fp8 v[136:139], a[110:111], a[30:31], v[136:139]// 00000000AD24: D3F30088 1E223D6E
	v_mfma_f32_16x16x32_fp8_fp8 v[80:83], a[80:81], a[32:33], v[80:83]// 00000000AD2C: D3F30050 1D424150
	v_mfma_f32_16x16x32_fp8_fp8 v[80:83], a[82:83], a[34:35], v[80:83]// 00000000AD34: D3F30050 1D424552
	v_mfma_f32_16x16x32_fp8_fp8 v[80:83], a[84:85], a[36:37], v[80:83]// 00000000AD3C: D3F30050 1D424954
	v_mfma_f32_16x16x32_fp8_fp8 v[80:83], a[86:87], a[38:39], v[80:83]// 00000000AD44: D3F30050 1D424D56
	v_mfma_f32_16x16x32_fp8_fp8 v[100:103], a[88:89], a[32:33], v[100:103]// 00000000AD4C: D3F30064 1D924158
	v_mfma_f32_16x16x32_fp8_fp8 v[100:103], a[90:91], a[34:35], v[100:103]// 00000000AD54: D3F30064 1D92455A
	v_mfma_f32_16x16x32_fp8_fp8 v[100:103], a[92:93], a[36:37], v[100:103]// 00000000AD5C: D3F30064 1D92495C
	v_mfma_f32_16x16x32_fp8_fp8 v[100:103], a[94:95], a[38:39], v[100:103]// 00000000AD64: D3F30064 1D924D5E
	v_mfma_f32_16x16x32_fp8_fp8 v[120:123], a[96:97], a[32:33], v[120:123]// 00000000AD6C: D3F30078 1DE24160
	v_mfma_f32_16x16x32_fp8_fp8 v[120:123], a[98:99], a[34:35], v[120:123]// 00000000AD74: D3F30078 1DE24562
	v_mfma_f32_16x16x32_fp8_fp8 v[120:123], a[100:101], a[36:37], v[120:123]// 00000000AD7C: D3F30078 1DE24964
	v_mfma_f32_16x16x32_fp8_fp8 v[120:123], a[102:103], a[38:39], v[120:123]// 00000000AD84: D3F30078 1DE24D66
	v_mfma_f32_16x16x32_fp8_fp8 v[140:143], a[104:105], a[32:33], v[140:143]// 00000000AD8C: D3F3008C 1E324168
	v_mfma_f32_16x16x32_fp8_fp8 v[140:143], a[106:107], a[34:35], v[140:143]// 00000000AD94: D3F3008C 1E32456A
	v_mfma_f32_16x16x32_fp8_fp8 v[140:143], a[108:109], a[36:37], v[140:143]// 00000000AD9C: D3F3008C 1E32496C
	v_mfma_f32_16x16x32_fp8_fp8 v[140:143], a[110:111], a[38:39], v[140:143]// 00000000ADA4: D3F3008C 1E324D6E
	s_waitcnt vmcnt(18)                                        // 00000000ADAC: BF8C4F72
	s_barrier                                                  // 00000000ADB0: BF8A0000
	v_mfma_f32_16x16x32_fp8_fp8 v[144:147], a[112:113], a[0:1], v[144:147]// 00000000ADB4: D3F30090 1E420170
	buffer_load_dwordx4 a[80:83], v60, s[84:87], 0 offen       // 00000000ADBC: E05C1000 8095503C
	v_mfma_f32_16x16x32_fp8_fp8 v[144:147], a[114:115], a[2:3], v[144:147]// 00000000ADC4: D3F30090 1E420572
	v_mfma_f32_16x16x32_fp8_fp8 v[144:147], a[116:117], a[4:5], v[144:147]// 00000000ADCC: D3F30090 1E420974
	ds_read_b128 a[40:43], v2 offset:10368                     // 00000000ADD4: DBFE2880 28000002
	ds_read_b128 a[44:47], v2 offset:10432                     // 00000000ADDC: DBFE28C0 2C000002
	v_mfma_f32_16x16x32_fp8_fp8 v[144:147], a[118:119], a[6:7], v[144:147]// 00000000ADE4: D3F30090 1E420D76
	v_mfma_f32_16x16x32_fp8_fp8 v[164:167], a[120:121], a[0:1], v[164:167]// 00000000ADEC: D3F300A4 1E920178
	buffer_load_dwordx4 a[84:87], v60, s[84:87], 0 offen offset:1024// 00000000ADF4: E05C1400 8095543C
	v_mfma_f32_16x16x32_fp8_fp8 v[164:167], a[122:123], a[2:3], v[164:167]// 00000000ADFC: D3F300A4 1E92057A
	v_mfma_f32_16x16x32_fp8_fp8 v[164:167], a[124:125], a[4:5], v[164:167]// 00000000AE04: D3F300A4 1E92097C
	ds_read_b128 a[48:51], v2 offset:10880                     // 00000000AE0C: DBFE2A80 30000002
	ds_read_b128 a[52:55], v2 offset:10944                     // 00000000AE14: DBFE2AC0 34000002
	v_mfma_f32_16x16x32_fp8_fp8 v[164:167], a[126:127], a[6:7], v[164:167]// 00000000AE1C: D3F300A4 1E920D7E
	v_mfma_f32_16x16x32_fp8_fp8 v[184:187], a[128:129], a[0:1], v[184:187]// 00000000AE24: D3F300B8 1EE20180
	buffer_load_dwordx4 a[88:91], v61, s[84:87], 0 offen       // 00000000AE2C: E05C1000 8095583D
	v_mfma_f32_16x16x32_fp8_fp8 v[184:187], a[130:131], a[2:3], v[184:187]// 00000000AE34: D3F300B8 1EE20582
	v_mfma_f32_16x16x32_fp8_fp8 v[184:187], a[132:133], a[4:5], v[184:187]// 00000000AE3C: D3F300B8 1EE20984
	ds_read_b128 a[56:59], v2 offset:11392                     // 00000000AE44: DBFE2C80 38000002
	ds_read_b128 a[60:63], v2 offset:11456                     // 00000000AE4C: DBFE2CC0 3C000002
	v_mfma_f32_16x16x32_fp8_fp8 v[184:187], a[134:135], a[6:7], v[184:187]// 00000000AE54: D3F300B8 1EE20D86
	v_mfma_f32_16x16x32_fp8_fp8 v[204:207], a[136:137], a[0:1], v[204:207]// 00000000AE5C: D3F300CC 1F320188
	buffer_load_dwordx4 a[92:95], v61, s[84:87], 0 offen offset:1024// 00000000AE64: E05C1400 80955C3D
	v_mfma_f32_16x16x32_fp8_fp8 v[204:207], a[138:139], a[2:3], v[204:207]// 00000000AE6C: D3F300CC 1F32058A
	v_mfma_f32_16x16x32_fp8_fp8 v[204:207], a[140:141], a[4:5], v[204:207]// 00000000AE74: D3F300CC 1F32098C
	ds_read_b128 a[64:67], v2 offset:11904                     // 00000000AE7C: DBFE2E80 40000002
	ds_read_b128 a[68:71], v2 offset:11968                     // 00000000AE84: DBFE2EC0 44000002
	v_mfma_f32_16x16x32_fp8_fp8 v[204:207], a[142:143], a[6:7], v[204:207]// 00000000AE8C: D3F300CC 1F320D8E
	v_mfma_f32_16x16x32_fp8_fp8 v[148:151], a[112:113], a[8:9], v[148:151]// 00000000AE94: D3F30094 1E521170
	buffer_load_dwordx4 a[96:99], v62, s[84:87], 0 offen       // 00000000AE9C: E05C1000 8095603E
	v_mfma_f32_16x16x32_fp8_fp8 v[148:151], a[114:115], a[10:11], v[148:151]// 00000000AEA4: D3F30094 1E521572
	v_mfma_f32_16x16x32_fp8_fp8 v[148:151], a[116:117], a[12:13], v[148:151]// 00000000AEAC: D3F30094 1E521974
	ds_read_b128 a[72:75], v2 offset:12416                     // 00000000AEB4: DBFE3080 48000002
	ds_read_b128 a[76:79], v2 offset:12480                     // 00000000AEBC: DBFE30C0 4C000002
	v_mfma_f32_16x16x32_fp8_fp8 v[148:151], a[118:119], a[14:15], v[148:151]// 00000000AEC4: D3F30094 1E521D76
	v_mfma_f32_16x16x32_fp8_fp8 v[168:171], a[120:121], a[8:9], v[168:171]// 00000000AECC: D3F300A8 1EA21178
	buffer_load_dwordx4 a[100:103], v62, s[84:87], 0 offen offset:1024// 00000000AED4: E05C1400 8095643E
	v_mfma_f32_16x16x32_fp8_fp8 v[168:171], a[122:123], a[10:11], v[168:171]// 00000000AEDC: D3F300A8 1EA2157A
	v_mfma_f32_16x16x32_fp8_fp8 v[168:171], a[124:125], a[12:13], v[168:171]// 00000000AEE4: D3F300A8 1EA2197C
	v_mfma_f32_16x16x32_fp8_fp8 v[168:171], a[126:127], a[14:15], v[168:171]// 00000000AEEC: D3F300A8 1EA21D7E
	v_mfma_f32_16x16x32_fp8_fp8 v[188:191], a[128:129], a[8:9], v[188:191]// 00000000AEF4: D3F300BC 1EF21180
	buffer_load_dwordx4 a[104:107], v63, s[84:87], 0 offen     // 00000000AEFC: E05C1000 8095683F
	v_mfma_f32_16x16x32_fp8_fp8 v[188:191], a[130:131], a[10:11], v[188:191]// 00000000AF04: D3F300BC 1EF21582
	v_mfma_f32_16x16x32_fp8_fp8 v[188:191], a[132:133], a[12:13], v[188:191]// 00000000AF0C: D3F300BC 1EF21984
	v_mfma_f32_16x16x32_fp8_fp8 v[188:191], a[134:135], a[14:15], v[188:191]// 00000000AF14: D3F300BC 1EF21D86
	v_mfma_f32_16x16x32_fp8_fp8 v[208:211], a[136:137], a[8:9], v[208:211]// 00000000AF1C: D3F300D0 1F421188
	buffer_load_dwordx4 a[108:111], v63, s[84:87], 0 offen offset:1024// 00000000AF24: E05C1400 80956C3F
	v_mfma_f32_16x16x32_fp8_fp8 v[208:211], a[138:139], a[10:11], v[208:211]// 00000000AF2C: D3F300D0 1F42158A
	v_mfma_f32_16x16x32_fp8_fp8 v[208:211], a[140:141], a[12:13], v[208:211]// 00000000AF34: D3F300D0 1F42198C
	v_mfma_f32_16x16x32_fp8_fp8 v[208:211], a[142:143], a[14:15], v[208:211]// 00000000AF3C: D3F300D0 1F421D8E
	v_mfma_f32_16x16x32_fp8_fp8 v[152:155], a[112:113], a[16:17], v[152:155]// 00000000AF44: D3F30098 1E622170
	v_mfma_f32_16x16x32_fp8_fp8 v[152:155], a[114:115], a[18:19], v[152:155]// 00000000AF4C: D3F30098 1E622572
	v_mfma_f32_16x16x32_fp8_fp8 v[152:155], a[116:117], a[20:21], v[152:155]// 00000000AF54: D3F30098 1E622974
	v_mfma_f32_16x16x32_fp8_fp8 v[152:155], a[118:119], a[22:23], v[152:155]// 00000000AF5C: D3F30098 1E622D76
	v_mfma_f32_16x16x32_fp8_fp8 v[172:175], a[120:121], a[16:17], v[172:175]// 00000000AF64: D3F300AC 1EB22178
	v_mfma_f32_16x16x32_fp8_fp8 v[172:175], a[122:123], a[18:19], v[172:175]// 00000000AF6C: D3F300AC 1EB2257A
	v_mfma_f32_16x16x32_fp8_fp8 v[172:175], a[124:125], a[20:21], v[172:175]// 00000000AF74: D3F300AC 1EB2297C
	v_mfma_f32_16x16x32_fp8_fp8 v[172:175], a[126:127], a[22:23], v[172:175]// 00000000AF7C: D3F300AC 1EB22D7E
	v_mfma_f32_16x16x32_fp8_fp8 v[192:195], a[128:129], a[16:17], v[192:195]// 00000000AF84: D3F300C0 1F022180
	v_mfma_f32_16x16x32_fp8_fp8 v[192:195], a[130:131], a[18:19], v[192:195]// 00000000AF8C: D3F300C0 1F022582
	v_mfma_f32_16x16x32_fp8_fp8 v[192:195], a[132:133], a[20:21], v[192:195]// 00000000AF94: D3F300C0 1F022984
	v_mfma_f32_16x16x32_fp8_fp8 v[192:195], a[134:135], a[22:23], v[192:195]// 00000000AF9C: D3F300C0 1F022D86
	v_mfma_f32_16x16x32_fp8_fp8 v[212:215], a[136:137], a[16:17], v[212:215]// 00000000AFA4: D3F300D4 1F522188
	v_mfma_f32_16x16x32_fp8_fp8 v[212:215], a[138:139], a[18:19], v[212:215]// 00000000AFAC: D3F300D4 1F52258A
	v_mfma_f32_16x16x32_fp8_fp8 v[212:215], a[140:141], a[20:21], v[212:215]// 00000000AFB4: D3F300D4 1F52298C
	v_mfma_f32_16x16x32_fp8_fp8 v[212:215], a[142:143], a[22:23], v[212:215]// 00000000AFBC: D3F300D4 1F522D8E
	v_mfma_f32_16x16x32_fp8_fp8 v[156:159], a[112:113], a[24:25], v[156:159]// 00000000AFC4: D3F3009C 1E723170
	v_mfma_f32_16x16x32_fp8_fp8 v[156:159], a[114:115], a[26:27], v[156:159]// 00000000AFCC: D3F3009C 1E723572
	v_mfma_f32_16x16x32_fp8_fp8 v[156:159], a[116:117], a[28:29], v[156:159]// 00000000AFD4: D3F3009C 1E723974
	v_mfma_f32_16x16x32_fp8_fp8 v[156:159], a[118:119], a[30:31], v[156:159]// 00000000AFDC: D3F3009C 1E723D76
	v_mfma_f32_16x16x32_fp8_fp8 v[176:179], a[120:121], a[24:25], v[176:179]// 00000000AFE4: D3F300B0 1EC23178
	v_mfma_f32_16x16x32_fp8_fp8 v[176:179], a[122:123], a[26:27], v[176:179]// 00000000AFEC: D3F300B0 1EC2357A
	v_mfma_f32_16x16x32_fp8_fp8 v[176:179], a[124:125], a[28:29], v[176:179]// 00000000AFF4: D3F300B0 1EC2397C
	v_mfma_f32_16x16x32_fp8_fp8 v[176:179], a[126:127], a[30:31], v[176:179]// 00000000AFFC: D3F300B0 1EC23D7E
	v_mfma_f32_16x16x32_fp8_fp8 v[196:199], a[128:129], a[24:25], v[196:199]// 00000000B004: D3F300C4 1F123180
	v_mfma_f32_16x16x32_fp8_fp8 v[196:199], a[130:131], a[26:27], v[196:199]// 00000000B00C: D3F300C4 1F123582
	v_mfma_f32_16x16x32_fp8_fp8 v[196:199], a[132:133], a[28:29], v[196:199]// 00000000B014: D3F300C4 1F123984
	v_mfma_f32_16x16x32_fp8_fp8 v[196:199], a[134:135], a[30:31], v[196:199]// 00000000B01C: D3F300C4 1F123D86
	v_mfma_f32_16x16x32_fp8_fp8 v[216:219], a[136:137], a[24:25], v[216:219]// 00000000B024: D3F300D8 1F623188
	v_mfma_f32_16x16x32_fp8_fp8 v[216:219], a[138:139], a[26:27], v[216:219]// 00000000B02C: D3F300D8 1F62358A
	v_mfma_f32_16x16x32_fp8_fp8 v[216:219], a[140:141], a[28:29], v[216:219]// 00000000B034: D3F300D8 1F62398C
	v_mfma_f32_16x16x32_fp8_fp8 v[216:219], a[142:143], a[30:31], v[216:219]// 00000000B03C: D3F300D8 1F623D8E
	v_mfma_f32_16x16x32_fp8_fp8 v[160:163], a[112:113], a[32:33], v[160:163]// 00000000B044: D3F300A0 1E824170
	v_mfma_f32_16x16x32_fp8_fp8 v[160:163], a[114:115], a[34:35], v[160:163]// 00000000B04C: D3F300A0 1E824572
	v_mfma_f32_16x16x32_fp8_fp8 v[160:163], a[116:117], a[36:37], v[160:163]// 00000000B054: D3F300A0 1E824974
	v_mfma_f32_16x16x32_fp8_fp8 v[160:163], a[118:119], a[38:39], v[160:163]// 00000000B05C: D3F300A0 1E824D76
	v_mfma_f32_16x16x32_fp8_fp8 v[180:183], a[120:121], a[32:33], v[180:183]// 00000000B064: D3F300B4 1ED24178
	v_mfma_f32_16x16x32_fp8_fp8 v[180:183], a[122:123], a[34:35], v[180:183]// 00000000B06C: D3F300B4 1ED2457A
	v_mfma_f32_16x16x32_fp8_fp8 v[180:183], a[124:125], a[36:37], v[180:183]// 00000000B074: D3F300B4 1ED2497C
	v_mfma_f32_16x16x32_fp8_fp8 v[180:183], a[126:127], a[38:39], v[180:183]// 00000000B07C: D3F300B4 1ED24D7E
	v_mfma_f32_16x16x32_fp8_fp8 v[200:203], a[128:129], a[32:33], v[200:203]// 00000000B084: D3F300C8 1F224180
	s_add_u32 s60, 0x180, s80                                  // 00000000B08C: 803C50FF 00000180
	s_cmp_lt_u32 s60, s81                                      // 00000000B094: BF0A513C
	s_cselect_b32 s57, s57, 0                                  // 00000000B098: 85398039
	v_mfma_f32_16x16x32_fp8_fp8 v[200:203], a[130:131], a[34:35], v[200:203]// 00000000B09C: D3F300C8 1F224582
	s_add_u32 s60, 0x100, s80                                  // 00000000B0A4: 803C50FF 00000100
	s_cmp_lt_u32 s60, s81                                      // 00000000B0AC: BF0A513C
	s_cselect_b32 s58, s58, 0                                  // 00000000B0B0: 853A803A
	v_mfma_f32_16x16x32_fp8_fp8 v[200:203], a[132:133], a[36:37], v[200:203]// 00000000B0B4: D3F300C8 1F224984
	s_add_u32 s60, 0x100, s80                                  // 00000000B0BC: 803C50FF 00000100
	s_cmp_lt_u32 s60, s81                                      // 00000000B0C4: BF0A513C
	s_cselect_b32 s83, s83, 0                                  // 00000000B0C8: 85538053
	v_mfma_f32_16x16x32_fp8_fp8 v[200:203], a[134:135], a[38:39], v[200:203]// 00000000B0CC: D3F300C8 1F224D86
	s_add_u32 s24, s58, s24                                    // 00000000B0D4: 8018183A
	s_addc_u32 s25, 0, s25                                     // 00000000B0D8: 82191980
	v_mfma_f32_16x16x32_fp8_fp8 v[220:223], a[136:137], a[32:33], v[220:223]// 00000000B0DC: D3F300DC 1F724188
	s_add_u32 s20, s57, s20                                    // 00000000B0E4: 80141439
	s_addc_u32 s21, 0, s21                                     // 00000000B0E8: 82151580
	v_mfma_f32_16x16x32_fp8_fp8 v[220:223], a[138:139], a[34:35], v[220:223]// 00000000B0EC: D3F300DC 1F72458A
	s_add_u32 s84, s83, s84                                    // 00000000B0F4: 80545453
	s_addc_u32 s85, 0, s85                                     // 00000000B0F8: 82555580
	v_mfma_f32_16x16x32_fp8_fp8 v[220:223], a[140:141], a[36:37], v[220:223]// 00000000B0FC: D3F300DC 1F72498C
	v_mfma_f32_16x16x32_fp8_fp8 v[220:223], a[142:143], a[38:39], v[220:223]// 00000000B104: D3F300DC 1F724D8E
	s_addk_i32 s80, 0x80                                       // 00000000B10C: B7500080
	s_cmp_lt_i32 s80, s81                                      // 00000000B110: BF045150
	s_cbranch_scc0 label_2A49                                  // 00000000B114: BF840880
	s_waitcnt vmcnt(18) lgkmcnt(0)                             // 00000000B118: BF8C4072
	v_mfma_f32_16x16x32_fp8_fp8 v[64:67], a[144:145], a[40:41], v[64:67]// 00000000B11C: D3F30040 1D025190
	buffer_load_dwordx4 a[112:115], v60, s[24:27], 0 offen     // 00000000B124: E05C1000 8086703C
	v_mfma_f32_16x16x32_fp8_fp8 v[64:67], a[146:147], a[42:43], v[64:67]// 00000000B12C: D3F30040 1D025592
	v_mfma_f32_16x16x32_fp8_fp8 v[64:67], a[148:149], a[44:45], v[64:67]// 00000000B134: D3F30040 1D025994
	v_mfma_f32_16x16x32_fp8_fp8 v[64:67], a[150:151], a[46:47], v[64:67]// 00000000B13C: D3F30040 1D025D96
	v_mfma_f32_16x16x32_fp8_fp8 v[84:87], a[152:153], a[40:41], v[84:87]// 00000000B144: D3F30054 1D525198
	buffer_load_dwordx4 a[116:119], v60, s[24:27], 0 offen offset:1024// 00000000B14C: E05C1400 8086743C
	v_mfma_f32_16x16x32_fp8_fp8 v[84:87], a[154:155], a[42:43], v[84:87]// 00000000B154: D3F30054 1D52559A
	v_mfma_f32_16x16x32_fp8_fp8 v[84:87], a[156:157], a[44:45], v[84:87]// 00000000B15C: D3F30054 1D52599C
	v_mfma_f32_16x16x32_fp8_fp8 v[84:87], a[158:159], a[46:47], v[84:87]// 00000000B164: D3F30054 1D525D9E
	v_mfma_f32_16x16x32_fp8_fp8 v[104:107], a[160:161], a[40:41], v[104:107]// 00000000B16C: D3F30068 1DA251A0
	buffer_load_dwordx4 a[120:123], v61, s[24:27], 0 offen     // 00000000B174: E05C1000 8086783D
	v_mfma_f32_16x16x32_fp8_fp8 v[104:107], a[162:163], a[42:43], v[104:107]// 00000000B17C: D3F30068 1DA255A2
	v_mfma_f32_16x16x32_fp8_fp8 v[104:107], a[164:165], a[44:45], v[104:107]// 00000000B184: D3F30068 1DA259A4
	v_mfma_f32_16x16x32_fp8_fp8 v[104:107], a[166:167], a[46:47], v[104:107]// 00000000B18C: D3F30068 1DA25DA6
	v_mfma_f32_16x16x32_fp8_fp8 v[124:127], a[168:169], a[40:41], v[124:127]// 00000000B194: D3F3007C 1DF251A8
	buffer_load_dwordx4 a[124:127], v61, s[24:27], 0 offen offset:1024// 00000000B19C: E05C1400 80867C3D
	v_mfma_f32_16x16x32_fp8_fp8 v[124:127], a[170:171], a[42:43], v[124:127]// 00000000B1A4: D3F3007C 1DF255AA
	v_mfma_f32_16x16x32_fp8_fp8 v[124:127], a[172:173], a[44:45], v[124:127]// 00000000B1AC: D3F3007C 1DF259AC
	v_mfma_f32_16x16x32_fp8_fp8 v[124:127], a[174:175], a[46:47], v[124:127]// 00000000B1B4: D3F3007C 1DF25DAE
	v_mfma_f32_16x16x32_fp8_fp8 v[68:71], a[144:145], a[48:49], v[68:71]// 00000000B1BC: D3F30044 1D126190
	buffer_load_dwordx4 a[128:131], v62, s[24:27], 0 offen     // 00000000B1C4: E05C1000 8086803E
	v_mfma_f32_16x16x32_fp8_fp8 v[68:71], a[146:147], a[50:51], v[68:71]// 00000000B1CC: D3F30044 1D126592
	v_mfma_f32_16x16x32_fp8_fp8 v[68:71], a[148:149], a[52:53], v[68:71]// 00000000B1D4: D3F30044 1D126994
	v_mfma_f32_16x16x32_fp8_fp8 v[68:71], a[150:151], a[54:55], v[68:71]// 00000000B1DC: D3F30044 1D126D96
	v_mfma_f32_16x16x32_fp8_fp8 v[88:91], a[152:153], a[48:49], v[88:91]// 00000000B1E4: D3F30058 1D626198
	buffer_load_dwordx4 a[132:135], v62, s[24:27], 0 offen offset:1024// 00000000B1EC: E05C1400 8086843E
	v_mfma_f32_16x16x32_fp8_fp8 v[88:91], a[154:155], a[50:51], v[88:91]// 00000000B1F4: D3F30058 1D62659A
	v_mfma_f32_16x16x32_fp8_fp8 v[88:91], a[156:157], a[52:53], v[88:91]// 00000000B1FC: D3F30058 1D62699C
	v_mfma_f32_16x16x32_fp8_fp8 v[88:91], a[158:159], a[54:55], v[88:91]// 00000000B204: D3F30058 1D626D9E
	v_mfma_f32_16x16x32_fp8_fp8 v[108:111], a[160:161], a[48:49], v[108:111]// 00000000B20C: D3F3006C 1DB261A0
	buffer_load_dwordx4 a[136:139], v63, s[24:27], 0 offen     // 00000000B214: E05C1000 8086883F
	v_mfma_f32_16x16x32_fp8_fp8 v[108:111], a[162:163], a[50:51], v[108:111]// 00000000B21C: D3F3006C 1DB265A2
	v_mfma_f32_16x16x32_fp8_fp8 v[108:111], a[164:165], a[52:53], v[108:111]// 00000000B224: D3F3006C 1DB269A4
	v_mfma_f32_16x16x32_fp8_fp8 v[108:111], a[166:167], a[54:55], v[108:111]// 00000000B22C: D3F3006C 1DB26DA6
	v_mfma_f32_16x16x32_fp8_fp8 v[128:131], a[168:169], a[48:49], v[128:131]// 00000000B234: D3F30080 1E0261A8
	buffer_load_dwordx4 a[140:143], v63, s[24:27], 0 offen offset:1024// 00000000B23C: E05C1400 80868C3F
	buffer_load_dword v50, s[20:23], 0 offen lds               // 00000000B244: E0511000 80050032
	s_add_u32 m0, 0x100, s48                                   // 00000000B24C: 807C30FF 00000100
	v_mfma_f32_16x16x32_fp8_fp8 v[128:131], a[170:171], a[50:51], v[128:131]// 00000000B254: D3F30080 1E0265AA
	v_mfma_f32_16x16x32_fp8_fp8 v[128:131], a[172:173], a[52:53], v[128:131]// 00000000B25C: D3F30080 1E0269AC
	buffer_load_dword v51, s[20:23], 0 offen lds               // 00000000B264: E0511000 80050033
	s_add_u32 m0, 0x200, s48                                   // 00000000B26C: 807C30FF 00000200
	v_mfma_f32_16x16x32_fp8_fp8 v[128:131], a[174:175], a[54:55], v[128:131]// 00000000B274: D3F30080 1E026DAE
	v_mfma_f32_16x16x32_fp8_fp8 v[72:75], a[144:145], a[56:57], v[72:75]// 00000000B27C: D3F30048 1D227190
	buffer_load_dword v52, s[20:23], 0 offen lds               // 00000000B284: E0511000 80050034
	s_add_u32 m0, 0x300, s48                                   // 00000000B28C: 807C30FF 00000300
	v_mfma_f32_16x16x32_fp8_fp8 v[72:75], a[146:147], a[58:59], v[72:75]// 00000000B294: D3F30048 1D227592
	v_mfma_f32_16x16x32_fp8_fp8 v[72:75], a[148:149], a[60:61], v[72:75]// 00000000B29C: D3F30048 1D227994
	buffer_load_dword v53, s[20:23], 0 offen lds               // 00000000B2A4: E0511000 80050035
	s_add_u32 m0, 0x400, s48                                   // 00000000B2AC: 807C30FF 00000400
	v_mfma_f32_16x16x32_fp8_fp8 v[72:75], a[150:151], a[62:63], v[72:75]// 00000000B2B4: D3F30048 1D227D96
	v_mfma_f32_16x16x32_fp8_fp8 v[92:95], a[152:153], a[56:57], v[92:95]// 00000000B2BC: D3F3005C 1D727198
	buffer_load_dword v54, s[20:23], 0 offen lds               // 00000000B2C4: E0511000 80050036
	s_add_u32 m0, 0x500, s48                                   // 00000000B2CC: 807C30FF 00000500
	v_mfma_f32_16x16x32_fp8_fp8 v[92:95], a[154:155], a[58:59], v[92:95]// 00000000B2D4: D3F3005C 1D72759A
	v_mfma_f32_16x16x32_fp8_fp8 v[92:95], a[156:157], a[60:61], v[92:95]// 00000000B2DC: D3F3005C 1D72799C
	buffer_load_dword v55, s[20:23], 0 offen lds               // 00000000B2E4: E0511000 80050037
	s_add_u32 m0, 0x600, s48                                   // 00000000B2EC: 807C30FF 00000600
	v_mfma_f32_16x16x32_fp8_fp8 v[92:95], a[158:159], a[62:63], v[92:95]// 00000000B2F4: D3F3005C 1D727D9E
	v_mfma_f32_16x16x32_fp8_fp8 v[112:115], a[160:161], a[56:57], v[112:115]// 00000000B2FC: D3F30070 1DC271A0
	buffer_load_dword v56, s[20:23], 0 offen lds               // 00000000B304: E0511000 80050038
	s_add_u32 m0, 0x700, s48                                   // 00000000B30C: 807C30FF 00000700
	v_mfma_f32_16x16x32_fp8_fp8 v[112:115], a[162:163], a[58:59], v[112:115]// 00000000B314: D3F30070 1DC275A2
	v_mfma_f32_16x16x32_fp8_fp8 v[112:115], a[164:165], a[60:61], v[112:115]// 00000000B31C: D3F30070 1DC279A4
	buffer_load_dword v57, s[20:23], 0 offen lds               // 00000000B324: E0511000 80050039
	s_add_u32 m0, 0x800, s48                                   // 00000000B32C: 807C30FF 00000800
	v_mfma_f32_16x16x32_fp8_fp8 v[112:115], a[166:167], a[62:63], v[112:115]// 00000000B334: D3F30070 1DC27DA6
	v_mfma_f32_16x16x32_fp8_fp8 v[132:135], a[168:169], a[56:57], v[132:135]// 00000000B33C: D3F30084 1E1271A8
	buffer_load_dword v58, s[20:23], 0 offen lds               // 00000000B344: E0511000 8005003A
	s_add_u32 m0, 0x900, s48                                   // 00000000B34C: 807C30FF 00000900
	v_mfma_f32_16x16x32_fp8_fp8 v[132:135], a[170:171], a[58:59], v[132:135]// 00000000B354: D3F30084 1E1275AA
	v_mfma_f32_16x16x32_fp8_fp8 v[132:135], a[172:173], a[60:61], v[132:135]// 00000000B35C: D3F30084 1E1279AC
	buffer_load_dword v59, s[20:23], 0 offen lds               // 00000000B364: E0511000 8005003B
	s_add_u32 m0, 0, s49                                       // 00000000B36C: 807C3180
	v_mfma_f32_16x16x32_fp8_fp8 v[132:135], a[174:175], a[62:63], v[132:135]// 00000000B370: D3F30084 1E127DAE
	v_mfma_f32_16x16x32_fp8_fp8 v[76:79], a[144:145], a[64:65], v[76:79]// 00000000B378: D3F3004C 1D328190
	v_mfma_f32_16x16x32_fp8_fp8 v[76:79], a[146:147], a[66:67], v[76:79]// 00000000B380: D3F3004C 1D328592
	v_mfma_f32_16x16x32_fp8_fp8 v[76:79], a[148:149], a[68:69], v[76:79]// 00000000B388: D3F3004C 1D328994
	v_mfma_f32_16x16x32_fp8_fp8 v[76:79], a[150:151], a[70:71], v[76:79]// 00000000B390: D3F3004C 1D328D96
	v_mfma_f32_16x16x32_fp8_fp8 v[96:99], a[152:153], a[64:65], v[96:99]// 00000000B398: D3F30060 1D828198
	v_mfma_f32_16x16x32_fp8_fp8 v[96:99], a[154:155], a[66:67], v[96:99]// 00000000B3A0: D3F30060 1D82859A
	v_mfma_f32_16x16x32_fp8_fp8 v[96:99], a[156:157], a[68:69], v[96:99]// 00000000B3A8: D3F30060 1D82899C
	v_mfma_f32_16x16x32_fp8_fp8 v[96:99], a[158:159], a[70:71], v[96:99]// 00000000B3B0: D3F30060 1D828D9E
	v_mfma_f32_16x16x32_fp8_fp8 v[116:119], a[160:161], a[64:65], v[116:119]// 00000000B3B8: D3F30074 1DD281A0
	v_mfma_f32_16x16x32_fp8_fp8 v[116:119], a[162:163], a[66:67], v[116:119]// 00000000B3C0: D3F30074 1DD285A2
	v_mfma_f32_16x16x32_fp8_fp8 v[116:119], a[164:165], a[68:69], v[116:119]// 00000000B3C8: D3F30074 1DD289A4
	v_mfma_f32_16x16x32_fp8_fp8 v[116:119], a[166:167], a[70:71], v[116:119]// 00000000B3D0: D3F30074 1DD28DA6
	v_mfma_f32_16x16x32_fp8_fp8 v[136:139], a[168:169], a[64:65], v[136:139]// 00000000B3D8: D3F30088 1E2281A8
	v_mfma_f32_16x16x32_fp8_fp8 v[136:139], a[170:171], a[66:67], v[136:139]// 00000000B3E0: D3F30088 1E2285AA
	v_mfma_f32_16x16x32_fp8_fp8 v[136:139], a[172:173], a[68:69], v[136:139]// 00000000B3E8: D3F30088 1E2289AC
	v_mfma_f32_16x16x32_fp8_fp8 v[136:139], a[174:175], a[70:71], v[136:139]// 00000000B3F0: D3F30088 1E228DAE
	v_mfma_f32_16x16x32_fp8_fp8 v[80:83], a[144:145], a[72:73], v[80:83]// 00000000B3F8: D3F30050 1D429190
	v_mfma_f32_16x16x32_fp8_fp8 v[80:83], a[146:147], a[74:75], v[80:83]// 00000000B400: D3F30050 1D429592
	v_mfma_f32_16x16x32_fp8_fp8 v[80:83], a[148:149], a[76:77], v[80:83]// 00000000B408: D3F30050 1D429994
	v_mfma_f32_16x16x32_fp8_fp8 v[80:83], a[150:151], a[78:79], v[80:83]// 00000000B410: D3F30050 1D429D96
	v_mfma_f32_16x16x32_fp8_fp8 v[100:103], a[152:153], a[72:73], v[100:103]// 00000000B418: D3F30064 1D929198
	v_mfma_f32_16x16x32_fp8_fp8 v[100:103], a[154:155], a[74:75], v[100:103]// 00000000B420: D3F30064 1D92959A
	v_mfma_f32_16x16x32_fp8_fp8 v[100:103], a[156:157], a[76:77], v[100:103]// 00000000B428: D3F30064 1D92999C
	v_mfma_f32_16x16x32_fp8_fp8 v[100:103], a[158:159], a[78:79], v[100:103]// 00000000B430: D3F30064 1D929D9E
	v_mfma_f32_16x16x32_fp8_fp8 v[120:123], a[160:161], a[72:73], v[120:123]// 00000000B438: D3F30078 1DE291A0
	v_mfma_f32_16x16x32_fp8_fp8 v[120:123], a[162:163], a[74:75], v[120:123]// 00000000B440: D3F30078 1DE295A2
	v_mfma_f32_16x16x32_fp8_fp8 v[120:123], a[164:165], a[76:77], v[120:123]// 00000000B448: D3F30078 1DE299A4
	v_mfma_f32_16x16x32_fp8_fp8 v[120:123], a[166:167], a[78:79], v[120:123]// 00000000B450: D3F30078 1DE29DA6
	v_mfma_f32_16x16x32_fp8_fp8 v[140:143], a[168:169], a[72:73], v[140:143]// 00000000B458: D3F3008C 1E3291A8
	v_mfma_f32_16x16x32_fp8_fp8 v[140:143], a[170:171], a[74:75], v[140:143]// 00000000B460: D3F3008C 1E3295AA
	v_mfma_f32_16x16x32_fp8_fp8 v[140:143], a[172:173], a[76:77], v[140:143]// 00000000B468: D3F3008C 1E3299AC
	v_mfma_f32_16x16x32_fp8_fp8 v[140:143], a[174:175], a[78:79], v[140:143]// 00000000B470: D3F3008C 1E329DAE
	s_waitcnt vmcnt(18)                                        // 00000000B478: BF8C4F72
	s_barrier                                                  // 00000000B47C: BF8A0000
	v_mfma_f32_16x16x32_fp8_fp8 v[144:147], a[80:81], a[40:41], v[144:147]// 00000000B480: D3F30090 1E425150
	buffer_load_dwordx4 a[144:147], v60, s[84:87], 0 offen     // 00000000B488: E05C1000 8095903C
	v_mfma_f32_16x16x32_fp8_fp8 v[144:147], a[82:83], a[42:43], v[144:147]// 00000000B490: D3F30090 1E425552
	v_mfma_f32_16x16x32_fp8_fp8 v[144:147], a[84:85], a[44:45], v[144:147]// 00000000B498: D3F30090 1E425954
	ds_read_b128 a[0:3], v2 offset:20736                       // 00000000B4A0: DBFE5100 00000002
	ds_read_b128 a[4:7], v2 offset:20800                       // 00000000B4A8: DBFE5140 04000002
	v_mfma_f32_16x16x32_fp8_fp8 v[144:147], a[86:87], a[46:47], v[144:147]// 00000000B4B0: D3F30090 1E425D56
	v_mfma_f32_16x16x32_fp8_fp8 v[164:167], a[88:89], a[40:41], v[164:167]// 00000000B4B8: D3F300A4 1E925158
	buffer_load_dwordx4 a[148:151], v60, s[84:87], 0 offen offset:1024// 00000000B4C0: E05C1400 8095943C
	v_mfma_f32_16x16x32_fp8_fp8 v[164:167], a[90:91], a[42:43], v[164:167]// 00000000B4C8: D3F300A4 1E92555A
	v_mfma_f32_16x16x32_fp8_fp8 v[164:167], a[92:93], a[44:45], v[164:167]// 00000000B4D0: D3F300A4 1E92595C
	ds_read_b128 a[8:11], v2 offset:21248                      // 00000000B4D8: DBFE5300 08000002
	ds_read_b128 a[12:15], v2 offset:21312                     // 00000000B4E0: DBFE5340 0C000002
	v_mfma_f32_16x16x32_fp8_fp8 v[164:167], a[94:95], a[46:47], v[164:167]// 00000000B4E8: D3F300A4 1E925D5E
	v_mfma_f32_16x16x32_fp8_fp8 v[184:187], a[96:97], a[40:41], v[184:187]// 00000000B4F0: D3F300B8 1EE25160
	buffer_load_dwordx4 a[152:155], v61, s[84:87], 0 offen     // 00000000B4F8: E05C1000 8095983D
	v_mfma_f32_16x16x32_fp8_fp8 v[184:187], a[98:99], a[42:43], v[184:187]// 00000000B500: D3F300B8 1EE25562
	v_mfma_f32_16x16x32_fp8_fp8 v[184:187], a[100:101], a[44:45], v[184:187]// 00000000B508: D3F300B8 1EE25964
	ds_read_b128 a[16:19], v2 offset:21760                     // 00000000B510: DBFE5500 10000002
	ds_read_b128 a[20:23], v2 offset:21824                     // 00000000B518: DBFE5540 14000002
	v_mfma_f32_16x16x32_fp8_fp8 v[184:187], a[102:103], a[46:47], v[184:187]// 00000000B520: D3F300B8 1EE25D66
	v_mfma_f32_16x16x32_fp8_fp8 v[204:207], a[104:105], a[40:41], v[204:207]// 00000000B528: D3F300CC 1F325168
	buffer_load_dwordx4 a[156:159], v61, s[84:87], 0 offen offset:1024// 00000000B530: E05C1400 80959C3D
	v_mfma_f32_16x16x32_fp8_fp8 v[204:207], a[106:107], a[42:43], v[204:207]// 00000000B538: D3F300CC 1F32556A
	v_mfma_f32_16x16x32_fp8_fp8 v[204:207], a[108:109], a[44:45], v[204:207]// 00000000B540: D3F300CC 1F32596C
	ds_read_b128 a[24:27], v2 offset:22272                     // 00000000B548: DBFE5700 18000002
	ds_read_b128 a[28:31], v2 offset:22336                     // 00000000B550: DBFE5740 1C000002
	v_mfma_f32_16x16x32_fp8_fp8 v[204:207], a[110:111], a[46:47], v[204:207]// 00000000B558: D3F300CC 1F325D6E
	v_mfma_f32_16x16x32_fp8_fp8 v[148:151], a[80:81], a[48:49], v[148:151]// 00000000B560: D3F30094 1E526150
	buffer_load_dwordx4 a[160:163], v62, s[84:87], 0 offen     // 00000000B568: E05C1000 8095A03E
	v_mfma_f32_16x16x32_fp8_fp8 v[148:151], a[82:83], a[50:51], v[148:151]// 00000000B570: D3F30094 1E526552
	v_mfma_f32_16x16x32_fp8_fp8 v[148:151], a[84:85], a[52:53], v[148:151]// 00000000B578: D3F30094 1E526954
	ds_read_b128 a[32:35], v2 offset:22784                     // 00000000B580: DBFE5900 20000002
	ds_read_b128 a[36:39], v2 offset:22848                     // 00000000B588: DBFE5940 24000002
	v_mfma_f32_16x16x32_fp8_fp8 v[148:151], a[86:87], a[54:55], v[148:151]// 00000000B590: D3F30094 1E526D56
	v_mfma_f32_16x16x32_fp8_fp8 v[168:171], a[88:89], a[48:49], v[168:171]// 00000000B598: D3F300A8 1EA26158
	buffer_load_dwordx4 a[164:167], v62, s[84:87], 0 offen offset:1024// 00000000B5A0: E05C1400 8095A43E
	v_mfma_f32_16x16x32_fp8_fp8 v[168:171], a[90:91], a[50:51], v[168:171]// 00000000B5A8: D3F300A8 1EA2655A
	v_mfma_f32_16x16x32_fp8_fp8 v[168:171], a[92:93], a[52:53], v[168:171]// 00000000B5B0: D3F300A8 1EA2695C
	v_mfma_f32_16x16x32_fp8_fp8 v[168:171], a[94:95], a[54:55], v[168:171]// 00000000B5B8: D3F300A8 1EA26D5E
	v_mfma_f32_16x16x32_fp8_fp8 v[188:191], a[96:97], a[48:49], v[188:191]// 00000000B5C0: D3F300BC 1EF26160
	buffer_load_dwordx4 a[168:171], v63, s[84:87], 0 offen     // 00000000B5C8: E05C1000 8095A83F
	v_mfma_f32_16x16x32_fp8_fp8 v[188:191], a[98:99], a[50:51], v[188:191]// 00000000B5D0: D3F300BC 1EF26562
	v_mfma_f32_16x16x32_fp8_fp8 v[188:191], a[100:101], a[52:53], v[188:191]// 00000000B5D8: D3F300BC 1EF26964
	v_mfma_f32_16x16x32_fp8_fp8 v[188:191], a[102:103], a[54:55], v[188:191]// 00000000B5E0: D3F300BC 1EF26D66
	v_mfma_f32_16x16x32_fp8_fp8 v[208:211], a[104:105], a[48:49], v[208:211]// 00000000B5E8: D3F300D0 1F426168
	buffer_load_dwordx4 a[172:175], v63, s[84:87], 0 offen offset:1024// 00000000B5F0: E05C1400 8095AC3F
	v_mfma_f32_16x16x32_fp8_fp8 v[208:211], a[106:107], a[50:51], v[208:211]// 00000000B5F8: D3F300D0 1F42656A
	v_mfma_f32_16x16x32_fp8_fp8 v[208:211], a[108:109], a[52:53], v[208:211]// 00000000B600: D3F300D0 1F42696C
	v_mfma_f32_16x16x32_fp8_fp8 v[208:211], a[110:111], a[54:55], v[208:211]// 00000000B608: D3F300D0 1F426D6E
	v_mfma_f32_16x16x32_fp8_fp8 v[152:155], a[80:81], a[56:57], v[152:155]// 00000000B610: D3F30098 1E627150
	v_mfma_f32_16x16x32_fp8_fp8 v[152:155], a[82:83], a[58:59], v[152:155]// 00000000B618: D3F30098 1E627552
	v_mfma_f32_16x16x32_fp8_fp8 v[152:155], a[84:85], a[60:61], v[152:155]// 00000000B620: D3F30098 1E627954
	v_mfma_f32_16x16x32_fp8_fp8 v[152:155], a[86:87], a[62:63], v[152:155]// 00000000B628: D3F30098 1E627D56
	v_mfma_f32_16x16x32_fp8_fp8 v[172:175], a[88:89], a[56:57], v[172:175]// 00000000B630: D3F300AC 1EB27158
	v_mfma_f32_16x16x32_fp8_fp8 v[172:175], a[90:91], a[58:59], v[172:175]// 00000000B638: D3F300AC 1EB2755A
	v_mfma_f32_16x16x32_fp8_fp8 v[172:175], a[92:93], a[60:61], v[172:175]// 00000000B640: D3F300AC 1EB2795C
	v_mfma_f32_16x16x32_fp8_fp8 v[172:175], a[94:95], a[62:63], v[172:175]// 00000000B648: D3F300AC 1EB27D5E
	v_mfma_f32_16x16x32_fp8_fp8 v[192:195], a[96:97], a[56:57], v[192:195]// 00000000B650: D3F300C0 1F027160
	v_mfma_f32_16x16x32_fp8_fp8 v[192:195], a[98:99], a[58:59], v[192:195]// 00000000B658: D3F300C0 1F027562
	v_mfma_f32_16x16x32_fp8_fp8 v[192:195], a[100:101], a[60:61], v[192:195]// 00000000B660: D3F300C0 1F027964
	v_mfma_f32_16x16x32_fp8_fp8 v[192:195], a[102:103], a[62:63], v[192:195]// 00000000B668: D3F300C0 1F027D66
	v_mfma_f32_16x16x32_fp8_fp8 v[212:215], a[104:105], a[56:57], v[212:215]// 00000000B670: D3F300D4 1F527168
	v_mfma_f32_16x16x32_fp8_fp8 v[212:215], a[106:107], a[58:59], v[212:215]// 00000000B678: D3F300D4 1F52756A
	v_mfma_f32_16x16x32_fp8_fp8 v[212:215], a[108:109], a[60:61], v[212:215]// 00000000B680: D3F300D4 1F52796C
	v_mfma_f32_16x16x32_fp8_fp8 v[212:215], a[110:111], a[62:63], v[212:215]// 00000000B688: D3F300D4 1F527D6E
	v_mfma_f32_16x16x32_fp8_fp8 v[156:159], a[80:81], a[64:65], v[156:159]// 00000000B690: D3F3009C 1E728150
	v_mfma_f32_16x16x32_fp8_fp8 v[156:159], a[82:83], a[66:67], v[156:159]// 00000000B698: D3F3009C 1E728552
	v_mfma_f32_16x16x32_fp8_fp8 v[156:159], a[84:85], a[68:69], v[156:159]// 00000000B6A0: D3F3009C 1E728954
	v_mfma_f32_16x16x32_fp8_fp8 v[156:159], a[86:87], a[70:71], v[156:159]// 00000000B6A8: D3F3009C 1E728D56
	v_mfma_f32_16x16x32_fp8_fp8 v[176:179], a[88:89], a[64:65], v[176:179]// 00000000B6B0: D3F300B0 1EC28158
	v_mfma_f32_16x16x32_fp8_fp8 v[176:179], a[90:91], a[66:67], v[176:179]// 00000000B6B8: D3F300B0 1EC2855A
	v_mfma_f32_16x16x32_fp8_fp8 v[176:179], a[92:93], a[68:69], v[176:179]// 00000000B6C0: D3F300B0 1EC2895C
	v_mfma_f32_16x16x32_fp8_fp8 v[176:179], a[94:95], a[70:71], v[176:179]// 00000000B6C8: D3F300B0 1EC28D5E
	v_mfma_f32_16x16x32_fp8_fp8 v[196:199], a[96:97], a[64:65], v[196:199]// 00000000B6D0: D3F300C4 1F128160
	v_mfma_f32_16x16x32_fp8_fp8 v[196:199], a[98:99], a[66:67], v[196:199]// 00000000B6D8: D3F300C4 1F128562
	v_mfma_f32_16x16x32_fp8_fp8 v[196:199], a[100:101], a[68:69], v[196:199]// 00000000B6E0: D3F300C4 1F128964
	v_mfma_f32_16x16x32_fp8_fp8 v[196:199], a[102:103], a[70:71], v[196:199]// 00000000B6E8: D3F300C4 1F128D66
	v_mfma_f32_16x16x32_fp8_fp8 v[216:219], a[104:105], a[64:65], v[216:219]// 00000000B6F0: D3F300D8 1F628168
	v_mfma_f32_16x16x32_fp8_fp8 v[216:219], a[106:107], a[66:67], v[216:219]// 00000000B6F8: D3F300D8 1F62856A
	v_mfma_f32_16x16x32_fp8_fp8 v[216:219], a[108:109], a[68:69], v[216:219]// 00000000B700: D3F300D8 1F62896C
	v_mfma_f32_16x16x32_fp8_fp8 v[216:219], a[110:111], a[70:71], v[216:219]// 00000000B708: D3F300D8 1F628D6E
	v_mfma_f32_16x16x32_fp8_fp8 v[160:163], a[80:81], a[72:73], v[160:163]// 00000000B710: D3F300A0 1E829150
	v_mfma_f32_16x16x32_fp8_fp8 v[160:163], a[82:83], a[74:75], v[160:163]// 00000000B718: D3F300A0 1E829552
	v_mfma_f32_16x16x32_fp8_fp8 v[160:163], a[84:85], a[76:77], v[160:163]// 00000000B720: D3F300A0 1E829954
	v_mfma_f32_16x16x32_fp8_fp8 v[160:163], a[86:87], a[78:79], v[160:163]// 00000000B728: D3F300A0 1E829D56
	v_mfma_f32_16x16x32_fp8_fp8 v[180:183], a[88:89], a[72:73], v[180:183]// 00000000B730: D3F300B4 1ED29158
	v_mfma_f32_16x16x32_fp8_fp8 v[180:183], a[90:91], a[74:75], v[180:183]// 00000000B738: D3F300B4 1ED2955A
	v_mfma_f32_16x16x32_fp8_fp8 v[180:183], a[92:93], a[76:77], v[180:183]// 00000000B740: D3F300B4 1ED2995C
	v_mfma_f32_16x16x32_fp8_fp8 v[180:183], a[94:95], a[78:79], v[180:183]// 00000000B748: D3F300B4 1ED29D5E
	v_mfma_f32_16x16x32_fp8_fp8 v[200:203], a[96:97], a[72:73], v[200:203]// 00000000B750: D3F300C8 1F229160
	s_add_u32 s60, 0x180, s80                                  // 00000000B758: 803C50FF 00000180
	s_cmp_lt_u32 s60, s81                                      // 00000000B760: BF0A513C
	s_cselect_b32 s57, s57, 0                                  // 00000000B764: 85398039
	v_mfma_f32_16x16x32_fp8_fp8 v[200:203], a[98:99], a[74:75], v[200:203]// 00000000B768: D3F300C8 1F229562
	s_add_u32 s60, 0x100, s80                                  // 00000000B770: 803C50FF 00000100
	s_cmp_lt_u32 s60, s81                                      // 00000000B778: BF0A513C
	s_cselect_b32 s58, s58, 0                                  // 00000000B77C: 853A803A
	v_mfma_f32_16x16x32_fp8_fp8 v[200:203], a[100:101], a[76:77], v[200:203]// 00000000B780: D3F300C8 1F229964
	s_add_u32 s60, 0x100, s80                                  // 00000000B788: 803C50FF 00000100
	s_cmp_lt_u32 s60, s81                                      // 00000000B790: BF0A513C
	s_cselect_b32 s83, s83, 0                                  // 00000000B794: 85538053
	v_mfma_f32_16x16x32_fp8_fp8 v[200:203], a[102:103], a[78:79], v[200:203]// 00000000B798: D3F300C8 1F229D66
	s_add_u32 s24, s58, s24                                    // 00000000B7A0: 8018183A
	s_addc_u32 s25, 0, s25                                     // 00000000B7A4: 82191980
	v_mfma_f32_16x16x32_fp8_fp8 v[220:223], a[104:105], a[72:73], v[220:223]// 00000000B7A8: D3F300DC 1F729168
	s_add_u32 s20, s57, s20                                    // 00000000B7B0: 80141439
	s_addc_u32 s21, 0, s21                                     // 00000000B7B4: 82151580
	v_mfma_f32_16x16x32_fp8_fp8 v[220:223], a[106:107], a[74:75], v[220:223]// 00000000B7B8: D3F300DC 1F72956A
	s_add_u32 s84, s83, s84                                    // 00000000B7C0: 80545453
	s_addc_u32 s85, 0, s85                                     // 00000000B7C4: 82555580
	v_mfma_f32_16x16x32_fp8_fp8 v[220:223], a[108:109], a[76:77], v[220:223]// 00000000B7C8: D3F300DC 1F72996C
	v_mfma_f32_16x16x32_fp8_fp8 v[220:223], a[110:111], a[78:79], v[220:223]// 00000000B7D0: D3F300DC 1F729D6E
	s_addk_i32 s80, 0x80                                       // 00000000B7D8: B7500080
	s_cmp_lt_i32 s80, s81                                      // 00000000B7DC: BF045150
	s_cbranch_scc0 label_2A49                                  // 00000000B7E0: BF8406CD
	s_waitcnt vmcnt(18) lgkmcnt(0)                             // 00000000B7E4: BF8C4072
	v_mfma_f32_16x16x32_fp8_fp8 v[64:67], a[112:113], a[0:1], v[64:67]// 00000000B7E8: D3F30040 1D020170
	buffer_load_dwordx4 a[80:83], v60, s[24:27], 0 offen       // 00000000B7F0: E05C1000 8086503C
	v_mfma_f32_16x16x32_fp8_fp8 v[64:67], a[114:115], a[2:3], v[64:67]// 00000000B7F8: D3F30040 1D020572
	v_mfma_f32_16x16x32_fp8_fp8 v[64:67], a[116:117], a[4:5], v[64:67]// 00000000B800: D3F30040 1D020974
	v_mfma_f32_16x16x32_fp8_fp8 v[64:67], a[118:119], a[6:7], v[64:67]// 00000000B808: D3F30040 1D020D76
	v_mfma_f32_16x16x32_fp8_fp8 v[84:87], a[120:121], a[0:1], v[84:87]// 00000000B810: D3F30054 1D520178
	buffer_load_dwordx4 a[84:87], v60, s[24:27], 0 offen offset:1024// 00000000B818: E05C1400 8086543C
	v_mfma_f32_16x16x32_fp8_fp8 v[84:87], a[122:123], a[2:3], v[84:87]// 00000000B820: D3F30054 1D52057A
	v_mfma_f32_16x16x32_fp8_fp8 v[84:87], a[124:125], a[4:5], v[84:87]// 00000000B828: D3F30054 1D52097C
	v_mfma_f32_16x16x32_fp8_fp8 v[84:87], a[126:127], a[6:7], v[84:87]// 00000000B830: D3F30054 1D520D7E
	v_mfma_f32_16x16x32_fp8_fp8 v[104:107], a[128:129], a[0:1], v[104:107]// 00000000B838: D3F30068 1DA20180
	buffer_load_dwordx4 a[88:91], v61, s[24:27], 0 offen       // 00000000B840: E05C1000 8086583D
	v_mfma_f32_16x16x32_fp8_fp8 v[104:107], a[130:131], a[2:3], v[104:107]// 00000000B848: D3F30068 1DA20582
	v_mfma_f32_16x16x32_fp8_fp8 v[104:107], a[132:133], a[4:5], v[104:107]// 00000000B850: D3F30068 1DA20984
	v_mfma_f32_16x16x32_fp8_fp8 v[104:107], a[134:135], a[6:7], v[104:107]// 00000000B858: D3F30068 1DA20D86
	v_mfma_f32_16x16x32_fp8_fp8 v[124:127], a[136:137], a[0:1], v[124:127]// 00000000B860: D3F3007C 1DF20188
	buffer_load_dwordx4 a[92:95], v61, s[24:27], 0 offen offset:1024// 00000000B868: E05C1400 80865C3D
	v_mfma_f32_16x16x32_fp8_fp8 v[124:127], a[138:139], a[2:3], v[124:127]// 00000000B870: D3F3007C 1DF2058A
	v_mfma_f32_16x16x32_fp8_fp8 v[124:127], a[140:141], a[4:5], v[124:127]// 00000000B878: D3F3007C 1DF2098C
	v_mfma_f32_16x16x32_fp8_fp8 v[124:127], a[142:143], a[6:7], v[124:127]// 00000000B880: D3F3007C 1DF20D8E
	v_mfma_f32_16x16x32_fp8_fp8 v[68:71], a[112:113], a[8:9], v[68:71]// 00000000B888: D3F30044 1D121170
	buffer_load_dwordx4 a[96:99], v62, s[24:27], 0 offen       // 00000000B890: E05C1000 8086603E
	v_mfma_f32_16x16x32_fp8_fp8 v[68:71], a[114:115], a[10:11], v[68:71]// 00000000B898: D3F30044 1D121572
	v_mfma_f32_16x16x32_fp8_fp8 v[68:71], a[116:117], a[12:13], v[68:71]// 00000000B8A0: D3F30044 1D121974
	v_mfma_f32_16x16x32_fp8_fp8 v[68:71], a[118:119], a[14:15], v[68:71]// 00000000B8A8: D3F30044 1D121D76
	v_mfma_f32_16x16x32_fp8_fp8 v[88:91], a[120:121], a[8:9], v[88:91]// 00000000B8B0: D3F30058 1D621178
	buffer_load_dwordx4 a[100:103], v62, s[24:27], 0 offen offset:1024// 00000000B8B8: E05C1400 8086643E
	v_mfma_f32_16x16x32_fp8_fp8 v[88:91], a[122:123], a[10:11], v[88:91]// 00000000B8C0: D3F30058 1D62157A
	v_mfma_f32_16x16x32_fp8_fp8 v[88:91], a[124:125], a[12:13], v[88:91]// 00000000B8C8: D3F30058 1D62197C
	v_mfma_f32_16x16x32_fp8_fp8 v[88:91], a[126:127], a[14:15], v[88:91]// 00000000B8D0: D3F30058 1D621D7E
	v_mfma_f32_16x16x32_fp8_fp8 v[108:111], a[128:129], a[8:9], v[108:111]// 00000000B8D8: D3F3006C 1DB21180
	buffer_load_dwordx4 a[104:107], v63, s[24:27], 0 offen     // 00000000B8E0: E05C1000 8086683F
	v_mfma_f32_16x16x32_fp8_fp8 v[108:111], a[130:131], a[10:11], v[108:111]// 00000000B8E8: D3F3006C 1DB21582
	v_mfma_f32_16x16x32_fp8_fp8 v[108:111], a[132:133], a[12:13], v[108:111]// 00000000B8F0: D3F3006C 1DB21984
	v_mfma_f32_16x16x32_fp8_fp8 v[108:111], a[134:135], a[14:15], v[108:111]// 00000000B8F8: D3F3006C 1DB21D86
	v_mfma_f32_16x16x32_fp8_fp8 v[128:131], a[136:137], a[8:9], v[128:131]// 00000000B900: D3F30080 1E021188
	buffer_load_dwordx4 a[108:111], v63, s[24:27], 0 offen offset:1024// 00000000B908: E05C1400 80866C3F
	buffer_load_dword v50, s[20:23], 0 offen lds               // 00000000B910: E0511000 80050032
	s_add_u32 m0, 0x100, s49                                   // 00000000B918: 807C31FF 00000100
	v_mfma_f32_16x16x32_fp8_fp8 v[128:131], a[138:139], a[10:11], v[128:131]// 00000000B920: D3F30080 1E02158A
	v_mfma_f32_16x16x32_fp8_fp8 v[128:131], a[140:141], a[12:13], v[128:131]// 00000000B928: D3F30080 1E02198C
	buffer_load_dword v51, s[20:23], 0 offen lds               // 00000000B930: E0511000 80050033
	s_add_u32 m0, 0x200, s49                                   // 00000000B938: 807C31FF 00000200
	v_mfma_f32_16x16x32_fp8_fp8 v[128:131], a[142:143], a[14:15], v[128:131]// 00000000B940: D3F30080 1E021D8E
	v_mfma_f32_16x16x32_fp8_fp8 v[72:75], a[112:113], a[16:17], v[72:75]// 00000000B948: D3F30048 1D222170
	buffer_load_dword v52, s[20:23], 0 offen lds               // 00000000B950: E0511000 80050034
	s_add_u32 m0, 0x300, s49                                   // 00000000B958: 807C31FF 00000300
	v_mfma_f32_16x16x32_fp8_fp8 v[72:75], a[114:115], a[18:19], v[72:75]// 00000000B960: D3F30048 1D222572
	v_mfma_f32_16x16x32_fp8_fp8 v[72:75], a[116:117], a[20:21], v[72:75]// 00000000B968: D3F30048 1D222974
	buffer_load_dword v53, s[20:23], 0 offen lds               // 00000000B970: E0511000 80050035
	s_add_u32 m0, 0x400, s49                                   // 00000000B978: 807C31FF 00000400
	v_mfma_f32_16x16x32_fp8_fp8 v[72:75], a[118:119], a[22:23], v[72:75]// 00000000B980: D3F30048 1D222D76
	v_mfma_f32_16x16x32_fp8_fp8 v[92:95], a[120:121], a[16:17], v[92:95]// 00000000B988: D3F3005C 1D722178
	buffer_load_dword v54, s[20:23], 0 offen lds               // 00000000B990: E0511000 80050036
	s_add_u32 m0, 0x500, s49                                   // 00000000B998: 807C31FF 00000500
	v_mfma_f32_16x16x32_fp8_fp8 v[92:95], a[122:123], a[18:19], v[92:95]// 00000000B9A0: D3F3005C 1D72257A
	v_mfma_f32_16x16x32_fp8_fp8 v[92:95], a[124:125], a[20:21], v[92:95]// 00000000B9A8: D3F3005C 1D72297C
	buffer_load_dword v55, s[20:23], 0 offen lds               // 00000000B9B0: E0511000 80050037
	s_add_u32 m0, 0x600, s49                                   // 00000000B9B8: 807C31FF 00000600
	v_mfma_f32_16x16x32_fp8_fp8 v[92:95], a[126:127], a[22:23], v[92:95]// 00000000B9C0: D3F3005C 1D722D7E
	v_mfma_f32_16x16x32_fp8_fp8 v[112:115], a[128:129], a[16:17], v[112:115]// 00000000B9C8: D3F30070 1DC22180
	buffer_load_dword v56, s[20:23], 0 offen lds               // 00000000B9D0: E0511000 80050038
	s_add_u32 m0, 0x700, s49                                   // 00000000B9D8: 807C31FF 00000700
	v_mfma_f32_16x16x32_fp8_fp8 v[112:115], a[130:131], a[18:19], v[112:115]// 00000000B9E0: D3F30070 1DC22582
	v_mfma_f32_16x16x32_fp8_fp8 v[112:115], a[132:133], a[20:21], v[112:115]// 00000000B9E8: D3F30070 1DC22984
	buffer_load_dword v57, s[20:23], 0 offen lds               // 00000000B9F0: E0511000 80050039
	s_add_u32 m0, 0x800, s49                                   // 00000000B9F8: 807C31FF 00000800
	v_mfma_f32_16x16x32_fp8_fp8 v[112:115], a[134:135], a[22:23], v[112:115]// 00000000BA00: D3F30070 1DC22D86
	v_mfma_f32_16x16x32_fp8_fp8 v[132:135], a[136:137], a[16:17], v[132:135]// 00000000BA08: D3F30084 1E122188
	buffer_load_dword v58, s[20:23], 0 offen lds               // 00000000BA10: E0511000 8005003A
	s_add_u32 m0, 0x900, s49                                   // 00000000BA18: 807C31FF 00000900
	v_mfma_f32_16x16x32_fp8_fp8 v[132:135], a[138:139], a[18:19], v[132:135]// 00000000BA20: D3F30084 1E12258A
	v_mfma_f32_16x16x32_fp8_fp8 v[132:135], a[140:141], a[20:21], v[132:135]// 00000000BA28: D3F30084 1E12298C
	buffer_load_dword v59, s[20:23], 0 offen lds               // 00000000BA30: E0511000 8005003B
	s_add_u32 m0, 0, s50                                       // 00000000BA38: 807C3280
	v_mfma_f32_16x16x32_fp8_fp8 v[132:135], a[142:143], a[22:23], v[132:135]// 00000000BA3C: D3F30084 1E122D8E
	v_mfma_f32_16x16x32_fp8_fp8 v[76:79], a[112:113], a[24:25], v[76:79]// 00000000BA44: D3F3004C 1D323170
	v_mfma_f32_16x16x32_fp8_fp8 v[76:79], a[114:115], a[26:27], v[76:79]// 00000000BA4C: D3F3004C 1D323572
	v_mfma_f32_16x16x32_fp8_fp8 v[76:79], a[116:117], a[28:29], v[76:79]// 00000000BA54: D3F3004C 1D323974
	v_mfma_f32_16x16x32_fp8_fp8 v[76:79], a[118:119], a[30:31], v[76:79]// 00000000BA5C: D3F3004C 1D323D76
	v_mfma_f32_16x16x32_fp8_fp8 v[96:99], a[120:121], a[24:25], v[96:99]// 00000000BA64: D3F30060 1D823178
	v_mfma_f32_16x16x32_fp8_fp8 v[96:99], a[122:123], a[26:27], v[96:99]// 00000000BA6C: D3F30060 1D82357A
	v_mfma_f32_16x16x32_fp8_fp8 v[96:99], a[124:125], a[28:29], v[96:99]// 00000000BA74: D3F30060 1D82397C
	v_mfma_f32_16x16x32_fp8_fp8 v[96:99], a[126:127], a[30:31], v[96:99]// 00000000BA7C: D3F30060 1D823D7E
	v_mfma_f32_16x16x32_fp8_fp8 v[116:119], a[128:129], a[24:25], v[116:119]// 00000000BA84: D3F30074 1DD23180
	v_mfma_f32_16x16x32_fp8_fp8 v[116:119], a[130:131], a[26:27], v[116:119]// 00000000BA8C: D3F30074 1DD23582
	v_mfma_f32_16x16x32_fp8_fp8 v[116:119], a[132:133], a[28:29], v[116:119]// 00000000BA94: D3F30074 1DD23984
	v_mfma_f32_16x16x32_fp8_fp8 v[116:119], a[134:135], a[30:31], v[116:119]// 00000000BA9C: D3F30074 1DD23D86
	v_mfma_f32_16x16x32_fp8_fp8 v[136:139], a[136:137], a[24:25], v[136:139]// 00000000BAA4: D3F30088 1E223188
	v_mfma_f32_16x16x32_fp8_fp8 v[136:139], a[138:139], a[26:27], v[136:139]// 00000000BAAC: D3F30088 1E22358A
	v_mfma_f32_16x16x32_fp8_fp8 v[136:139], a[140:141], a[28:29], v[136:139]// 00000000BAB4: D3F30088 1E22398C
	v_mfma_f32_16x16x32_fp8_fp8 v[136:139], a[142:143], a[30:31], v[136:139]// 00000000BABC: D3F30088 1E223D8E
	v_mfma_f32_16x16x32_fp8_fp8 v[80:83], a[112:113], a[32:33], v[80:83]// 00000000BAC4: D3F30050 1D424170
	v_mfma_f32_16x16x32_fp8_fp8 v[80:83], a[114:115], a[34:35], v[80:83]// 00000000BACC: D3F30050 1D424572
	v_mfma_f32_16x16x32_fp8_fp8 v[80:83], a[116:117], a[36:37], v[80:83]// 00000000BAD4: D3F30050 1D424974
	v_mfma_f32_16x16x32_fp8_fp8 v[80:83], a[118:119], a[38:39], v[80:83]// 00000000BADC: D3F30050 1D424D76
	v_mfma_f32_16x16x32_fp8_fp8 v[100:103], a[120:121], a[32:33], v[100:103]// 00000000BAE4: D3F30064 1D924178
	v_mfma_f32_16x16x32_fp8_fp8 v[100:103], a[122:123], a[34:35], v[100:103]// 00000000BAEC: D3F30064 1D92457A
	v_mfma_f32_16x16x32_fp8_fp8 v[100:103], a[124:125], a[36:37], v[100:103]// 00000000BAF4: D3F30064 1D92497C
	v_mfma_f32_16x16x32_fp8_fp8 v[100:103], a[126:127], a[38:39], v[100:103]// 00000000BAFC: D3F30064 1D924D7E
	v_mfma_f32_16x16x32_fp8_fp8 v[120:123], a[128:129], a[32:33], v[120:123]// 00000000BB04: D3F30078 1DE24180
	v_mfma_f32_16x16x32_fp8_fp8 v[120:123], a[130:131], a[34:35], v[120:123]// 00000000BB0C: D3F30078 1DE24582
	v_mfma_f32_16x16x32_fp8_fp8 v[120:123], a[132:133], a[36:37], v[120:123]// 00000000BB14: D3F30078 1DE24984
	v_mfma_f32_16x16x32_fp8_fp8 v[120:123], a[134:135], a[38:39], v[120:123]// 00000000BB1C: D3F30078 1DE24D86
	v_mfma_f32_16x16x32_fp8_fp8 v[140:143], a[136:137], a[32:33], v[140:143]// 00000000BB24: D3F3008C 1E324188
	v_mfma_f32_16x16x32_fp8_fp8 v[140:143], a[138:139], a[34:35], v[140:143]// 00000000BB2C: D3F3008C 1E32458A
	v_mfma_f32_16x16x32_fp8_fp8 v[140:143], a[140:141], a[36:37], v[140:143]// 00000000BB34: D3F3008C 1E32498C
	v_mfma_f32_16x16x32_fp8_fp8 v[140:143], a[142:143], a[38:39], v[140:143]// 00000000BB3C: D3F3008C 1E324D8E
	s_waitcnt vmcnt(18)                                        // 00000000BB44: BF8C4F72
	s_barrier                                                  // 00000000BB48: BF8A0000
	v_mfma_f32_16x16x32_fp8_fp8 v[144:147], a[144:145], a[0:1], v[144:147]// 00000000BB4C: D3F30090 1E420190
	buffer_load_dwordx4 a[112:115], v60, s[84:87], 0 offen     // 00000000BB54: E05C1000 8095703C
	v_mfma_f32_16x16x32_fp8_fp8 v[144:147], a[146:147], a[2:3], v[144:147]// 00000000BB5C: D3F30090 1E420592
	v_mfma_f32_16x16x32_fp8_fp8 v[144:147], a[148:149], a[4:5], v[144:147]// 00000000BB64: D3F30090 1E420994
	ds_read_b128 a[40:43], v2                                  // 00000000BB6C: DBFE0000 28000002
	ds_read_b128 a[44:47], v2 offset:64                        // 00000000BB74: DBFE0040 2C000002
	v_mfma_f32_16x16x32_fp8_fp8 v[144:147], a[150:151], a[6:7], v[144:147]// 00000000BB7C: D3F30090 1E420D96
	v_mfma_f32_16x16x32_fp8_fp8 v[164:167], a[152:153], a[0:1], v[164:167]// 00000000BB84: D3F300A4 1E920198
	buffer_load_dwordx4 a[116:119], v60, s[84:87], 0 offen offset:1024// 00000000BB8C: E05C1400 8095743C
	v_mfma_f32_16x16x32_fp8_fp8 v[164:167], a[154:155], a[2:3], v[164:167]// 00000000BB94: D3F300A4 1E92059A
	v_mfma_f32_16x16x32_fp8_fp8 v[164:167], a[156:157], a[4:5], v[164:167]// 00000000BB9C: D3F300A4 1E92099C
	ds_read_b128 a[48:51], v2 offset:512                       // 00000000BBA4: DBFE0200 30000002
	ds_read_b128 a[52:55], v2 offset:576                       // 00000000BBAC: DBFE0240 34000002
	v_mfma_f32_16x16x32_fp8_fp8 v[164:167], a[158:159], a[6:7], v[164:167]// 00000000BBB4: D3F300A4 1E920D9E
	v_mfma_f32_16x16x32_fp8_fp8 v[184:187], a[160:161], a[0:1], v[184:187]// 00000000BBBC: D3F300B8 1EE201A0
	buffer_load_dwordx4 a[120:123], v61, s[84:87], 0 offen     // 00000000BBC4: E05C1000 8095783D
	v_mfma_f32_16x16x32_fp8_fp8 v[184:187], a[162:163], a[2:3], v[184:187]// 00000000BBCC: D3F300B8 1EE205A2
	v_mfma_f32_16x16x32_fp8_fp8 v[184:187], a[164:165], a[4:5], v[184:187]// 00000000BBD4: D3F300B8 1EE209A4
	ds_read_b128 a[56:59], v2 offset:1024                      // 00000000BBDC: DBFE0400 38000002
	ds_read_b128 a[60:63], v2 offset:1088                      // 00000000BBE4: DBFE0440 3C000002
	v_mfma_f32_16x16x32_fp8_fp8 v[184:187], a[166:167], a[6:7], v[184:187]// 00000000BBEC: D3F300B8 1EE20DA6
	v_mfma_f32_16x16x32_fp8_fp8 v[204:207], a[168:169], a[0:1], v[204:207]// 00000000BBF4: D3F300CC 1F3201A8
	buffer_load_dwordx4 a[124:127], v61, s[84:87], 0 offen offset:1024// 00000000BBFC: E05C1400 80957C3D
	v_mfma_f32_16x16x32_fp8_fp8 v[204:207], a[170:171], a[2:3], v[204:207]// 00000000BC04: D3F300CC 1F3205AA
	v_mfma_f32_16x16x32_fp8_fp8 v[204:207], a[172:173], a[4:5], v[204:207]// 00000000BC0C: D3F300CC 1F3209AC
	ds_read_b128 a[64:67], v2 offset:1536                      // 00000000BC14: DBFE0600 40000002
	ds_read_b128 a[68:71], v2 offset:1600                      // 00000000BC1C: DBFE0640 44000002
	v_mfma_f32_16x16x32_fp8_fp8 v[204:207], a[174:175], a[6:7], v[204:207]// 00000000BC24: D3F300CC 1F320DAE
	v_mfma_f32_16x16x32_fp8_fp8 v[148:151], a[144:145], a[8:9], v[148:151]// 00000000BC2C: D3F30094 1E521190
	buffer_load_dwordx4 a[128:131], v62, s[84:87], 0 offen     // 00000000BC34: E05C1000 8095803E
	v_mfma_f32_16x16x32_fp8_fp8 v[148:151], a[146:147], a[10:11], v[148:151]// 00000000BC3C: D3F30094 1E521592
	v_mfma_f32_16x16x32_fp8_fp8 v[148:151], a[148:149], a[12:13], v[148:151]// 00000000BC44: D3F30094 1E521994
	ds_read_b128 a[72:75], v2 offset:2048                      // 00000000BC4C: DBFE0800 48000002
	ds_read_b128 a[76:79], v2 offset:2112                      // 00000000BC54: DBFE0840 4C000002
	v_mfma_f32_16x16x32_fp8_fp8 v[148:151], a[150:151], a[14:15], v[148:151]// 00000000BC5C: D3F30094 1E521D96
	v_mfma_f32_16x16x32_fp8_fp8 v[168:171], a[152:153], a[8:9], v[168:171]// 00000000BC64: D3F300A8 1EA21198
	buffer_load_dwordx4 a[132:135], v62, s[84:87], 0 offen offset:1024// 00000000BC6C: E05C1400 8095843E
	v_mfma_f32_16x16x32_fp8_fp8 v[168:171], a[154:155], a[10:11], v[168:171]// 00000000BC74: D3F300A8 1EA2159A
	v_mfma_f32_16x16x32_fp8_fp8 v[168:171], a[156:157], a[12:13], v[168:171]// 00000000BC7C: D3F300A8 1EA2199C
	v_mfma_f32_16x16x32_fp8_fp8 v[168:171], a[158:159], a[14:15], v[168:171]// 00000000BC84: D3F300A8 1EA21D9E
	v_mfma_f32_16x16x32_fp8_fp8 v[188:191], a[160:161], a[8:9], v[188:191]// 00000000BC8C: D3F300BC 1EF211A0
	buffer_load_dwordx4 a[136:139], v63, s[84:87], 0 offen     // 00000000BC94: E05C1000 8095883F
	v_mfma_f32_16x16x32_fp8_fp8 v[188:191], a[162:163], a[10:11], v[188:191]// 00000000BC9C: D3F300BC 1EF215A2
	v_mfma_f32_16x16x32_fp8_fp8 v[188:191], a[164:165], a[12:13], v[188:191]// 00000000BCA4: D3F300BC 1EF219A4
	v_mfma_f32_16x16x32_fp8_fp8 v[188:191], a[166:167], a[14:15], v[188:191]// 00000000BCAC: D3F300BC 1EF21DA6
	v_mfma_f32_16x16x32_fp8_fp8 v[208:211], a[168:169], a[8:9], v[208:211]// 00000000BCB4: D3F300D0 1F4211A8
	buffer_load_dwordx4 a[140:143], v63, s[84:87], 0 offen offset:1024// 00000000BCBC: E05C1400 80958C3F
	v_mfma_f32_16x16x32_fp8_fp8 v[208:211], a[170:171], a[10:11], v[208:211]// 00000000BCC4: D3F300D0 1F4215AA
	v_mfma_f32_16x16x32_fp8_fp8 v[208:211], a[172:173], a[12:13], v[208:211]// 00000000BCCC: D3F300D0 1F4219AC
	v_mfma_f32_16x16x32_fp8_fp8 v[208:211], a[174:175], a[14:15], v[208:211]// 00000000BCD4: D3F300D0 1F421DAE
	v_mfma_f32_16x16x32_fp8_fp8 v[152:155], a[144:145], a[16:17], v[152:155]// 00000000BCDC: D3F30098 1E622190
	v_mfma_f32_16x16x32_fp8_fp8 v[152:155], a[146:147], a[18:19], v[152:155]// 00000000BCE4: D3F30098 1E622592
	v_mfma_f32_16x16x32_fp8_fp8 v[152:155], a[148:149], a[20:21], v[152:155]// 00000000BCEC: D3F30098 1E622994
	v_mfma_f32_16x16x32_fp8_fp8 v[152:155], a[150:151], a[22:23], v[152:155]// 00000000BCF4: D3F30098 1E622D96
	v_mfma_f32_16x16x32_fp8_fp8 v[172:175], a[152:153], a[16:17], v[172:175]// 00000000BCFC: D3F300AC 1EB22198
	v_mfma_f32_16x16x32_fp8_fp8 v[172:175], a[154:155], a[18:19], v[172:175]// 00000000BD04: D3F300AC 1EB2259A
	v_mfma_f32_16x16x32_fp8_fp8 v[172:175], a[156:157], a[20:21], v[172:175]// 00000000BD0C: D3F300AC 1EB2299C
	v_mfma_f32_16x16x32_fp8_fp8 v[172:175], a[158:159], a[22:23], v[172:175]// 00000000BD14: D3F300AC 1EB22D9E
	v_mfma_f32_16x16x32_fp8_fp8 v[192:195], a[160:161], a[16:17], v[192:195]// 00000000BD1C: D3F300C0 1F0221A0
	v_mfma_f32_16x16x32_fp8_fp8 v[192:195], a[162:163], a[18:19], v[192:195]// 00000000BD24: D3F300C0 1F0225A2
	v_mfma_f32_16x16x32_fp8_fp8 v[192:195], a[164:165], a[20:21], v[192:195]// 00000000BD2C: D3F300C0 1F0229A4
	v_mfma_f32_16x16x32_fp8_fp8 v[192:195], a[166:167], a[22:23], v[192:195]// 00000000BD34: D3F300C0 1F022DA6
	v_mfma_f32_16x16x32_fp8_fp8 v[212:215], a[168:169], a[16:17], v[212:215]// 00000000BD3C: D3F300D4 1F5221A8
	v_mfma_f32_16x16x32_fp8_fp8 v[212:215], a[170:171], a[18:19], v[212:215]// 00000000BD44: D3F300D4 1F5225AA
	v_mfma_f32_16x16x32_fp8_fp8 v[212:215], a[172:173], a[20:21], v[212:215]// 00000000BD4C: D3F300D4 1F5229AC
	v_mfma_f32_16x16x32_fp8_fp8 v[212:215], a[174:175], a[22:23], v[212:215]// 00000000BD54: D3F300D4 1F522DAE
	v_mfma_f32_16x16x32_fp8_fp8 v[156:159], a[144:145], a[24:25], v[156:159]// 00000000BD5C: D3F3009C 1E723190
	v_mfma_f32_16x16x32_fp8_fp8 v[156:159], a[146:147], a[26:27], v[156:159]// 00000000BD64: D3F3009C 1E723592
	v_mfma_f32_16x16x32_fp8_fp8 v[156:159], a[148:149], a[28:29], v[156:159]// 00000000BD6C: D3F3009C 1E723994
	v_mfma_f32_16x16x32_fp8_fp8 v[156:159], a[150:151], a[30:31], v[156:159]// 00000000BD74: D3F3009C 1E723D96
	v_mfma_f32_16x16x32_fp8_fp8 v[176:179], a[152:153], a[24:25], v[176:179]// 00000000BD7C: D3F300B0 1EC23198
	v_mfma_f32_16x16x32_fp8_fp8 v[176:179], a[154:155], a[26:27], v[176:179]// 00000000BD84: D3F300B0 1EC2359A
	v_mfma_f32_16x16x32_fp8_fp8 v[176:179], a[156:157], a[28:29], v[176:179]// 00000000BD8C: D3F300B0 1EC2399C
	v_mfma_f32_16x16x32_fp8_fp8 v[176:179], a[158:159], a[30:31], v[176:179]// 00000000BD94: D3F300B0 1EC23D9E
	v_mfma_f32_16x16x32_fp8_fp8 v[196:199], a[160:161], a[24:25], v[196:199]// 00000000BD9C: D3F300C4 1F1231A0
	v_mfma_f32_16x16x32_fp8_fp8 v[196:199], a[162:163], a[26:27], v[196:199]// 00000000BDA4: D3F300C4 1F1235A2
	v_mfma_f32_16x16x32_fp8_fp8 v[196:199], a[164:165], a[28:29], v[196:199]// 00000000BDAC: D3F300C4 1F1239A4
	v_mfma_f32_16x16x32_fp8_fp8 v[196:199], a[166:167], a[30:31], v[196:199]// 00000000BDB4: D3F300C4 1F123DA6
	v_mfma_f32_16x16x32_fp8_fp8 v[216:219], a[168:169], a[24:25], v[216:219]// 00000000BDBC: D3F300D8 1F6231A8
	v_mfma_f32_16x16x32_fp8_fp8 v[216:219], a[170:171], a[26:27], v[216:219]// 00000000BDC4: D3F300D8 1F6235AA
	v_mfma_f32_16x16x32_fp8_fp8 v[216:219], a[172:173], a[28:29], v[216:219]// 00000000BDCC: D3F300D8 1F6239AC
	v_mfma_f32_16x16x32_fp8_fp8 v[216:219], a[174:175], a[30:31], v[216:219]// 00000000BDD4: D3F300D8 1F623DAE
	v_mfma_f32_16x16x32_fp8_fp8 v[160:163], a[144:145], a[32:33], v[160:163]// 00000000BDDC: D3F300A0 1E824190
	v_mfma_f32_16x16x32_fp8_fp8 v[160:163], a[146:147], a[34:35], v[160:163]// 00000000BDE4: D3F300A0 1E824592
	v_mfma_f32_16x16x32_fp8_fp8 v[160:163], a[148:149], a[36:37], v[160:163]// 00000000BDEC: D3F300A0 1E824994
	v_mfma_f32_16x16x32_fp8_fp8 v[160:163], a[150:151], a[38:39], v[160:163]// 00000000BDF4: D3F300A0 1E824D96
	v_mfma_f32_16x16x32_fp8_fp8 v[180:183], a[152:153], a[32:33], v[180:183]// 00000000BDFC: D3F300B4 1ED24198
	v_mfma_f32_16x16x32_fp8_fp8 v[180:183], a[154:155], a[34:35], v[180:183]// 00000000BE04: D3F300B4 1ED2459A
	v_mfma_f32_16x16x32_fp8_fp8 v[180:183], a[156:157], a[36:37], v[180:183]// 00000000BE0C: D3F300B4 1ED2499C
	v_mfma_f32_16x16x32_fp8_fp8 v[180:183], a[158:159], a[38:39], v[180:183]// 00000000BE14: D3F300B4 1ED24D9E
	v_mfma_f32_16x16x32_fp8_fp8 v[200:203], a[160:161], a[32:33], v[200:203]// 00000000BE1C: D3F300C8 1F2241A0
	s_add_u32 s60, 0x180, s80                                  // 00000000BE24: 803C50FF 00000180
	s_cmp_lt_u32 s60, s81                                      // 00000000BE2C: BF0A513C
	s_cselect_b32 s57, s57, 0                                  // 00000000BE30: 85398039
	v_mfma_f32_16x16x32_fp8_fp8 v[200:203], a[162:163], a[34:35], v[200:203]// 00000000BE34: D3F300C8 1F2245A2
	s_add_u32 s60, 0x100, s80                                  // 00000000BE3C: 803C50FF 00000100
	s_cmp_lt_u32 s60, s81                                      // 00000000BE44: BF0A513C
	s_cselect_b32 s58, s58, 0                                  // 00000000BE48: 853A803A
	v_mfma_f32_16x16x32_fp8_fp8 v[200:203], a[164:165], a[36:37], v[200:203]// 00000000BE4C: D3F300C8 1F2249A4
	s_add_u32 s60, 0x100, s80                                  // 00000000BE54: 803C50FF 00000100
	s_cmp_lt_u32 s60, s81                                      // 00000000BE5C: BF0A513C
	s_cselect_b32 s83, s83, 0                                  // 00000000BE60: 85538053
	v_mfma_f32_16x16x32_fp8_fp8 v[200:203], a[166:167], a[38:39], v[200:203]// 00000000BE64: D3F300C8 1F224DA6
	s_add_u32 s24, s58, s24                                    // 00000000BE6C: 8018183A
	s_addc_u32 s25, 0, s25                                     // 00000000BE70: 82191980
	v_mfma_f32_16x16x32_fp8_fp8 v[220:223], a[168:169], a[32:33], v[220:223]// 00000000BE74: D3F300DC 1F7241A8
	s_add_u32 s20, s57, s20                                    // 00000000BE7C: 80141439
	s_addc_u32 s21, 0, s21                                     // 00000000BE80: 82151580
	v_mfma_f32_16x16x32_fp8_fp8 v[220:223], a[170:171], a[34:35], v[220:223]// 00000000BE84: D3F300DC 1F7245AA
	s_add_u32 s84, s83, s84                                    // 00000000BE8C: 80545453
	s_addc_u32 s85, 0, s85                                     // 00000000BE90: 82555580
	v_mfma_f32_16x16x32_fp8_fp8 v[220:223], a[172:173], a[36:37], v[220:223]// 00000000BE94: D3F300DC 1F7249AC
	v_mfma_f32_16x16x32_fp8_fp8 v[220:223], a[174:175], a[38:39], v[220:223]// 00000000BE9C: D3F300DC 1F724DAE
	s_addk_i32 s80, 0x80                                       // 00000000BEA4: B7500080
	s_cmp_lt_i32 s80, s81                                      // 00000000BEA8: BF045150
	s_cbranch_scc0 label_2A49                                  // 00000000BEAC: BF84051A
	s_waitcnt vmcnt(18) lgkmcnt(0)                             // 00000000BEB0: BF8C4072
	v_mfma_f32_16x16x32_fp8_fp8 v[64:67], a[80:81], a[40:41], v[64:67]// 00000000BEB4: D3F30040 1D025150
	buffer_load_dwordx4 a[144:147], v60, s[24:27], 0 offen     // 00000000BEBC: E05C1000 8086903C
	v_mfma_f32_16x16x32_fp8_fp8 v[64:67], a[82:83], a[42:43], v[64:67]// 00000000BEC4: D3F30040 1D025552
	v_mfma_f32_16x16x32_fp8_fp8 v[64:67], a[84:85], a[44:45], v[64:67]// 00000000BECC: D3F30040 1D025954
	v_mfma_f32_16x16x32_fp8_fp8 v[64:67], a[86:87], a[46:47], v[64:67]// 00000000BED4: D3F30040 1D025D56
	v_mfma_f32_16x16x32_fp8_fp8 v[84:87], a[88:89], a[40:41], v[84:87]// 00000000BEDC: D3F30054 1D525158
	buffer_load_dwordx4 a[148:151], v60, s[24:27], 0 offen offset:1024// 00000000BEE4: E05C1400 8086943C
	v_mfma_f32_16x16x32_fp8_fp8 v[84:87], a[90:91], a[42:43], v[84:87]// 00000000BEEC: D3F30054 1D52555A
	v_mfma_f32_16x16x32_fp8_fp8 v[84:87], a[92:93], a[44:45], v[84:87]// 00000000BEF4: D3F30054 1D52595C
	v_mfma_f32_16x16x32_fp8_fp8 v[84:87], a[94:95], a[46:47], v[84:87]// 00000000BEFC: D3F30054 1D525D5E
	v_mfma_f32_16x16x32_fp8_fp8 v[104:107], a[96:97], a[40:41], v[104:107]// 00000000BF04: D3F30068 1DA25160
	buffer_load_dwordx4 a[152:155], v61, s[24:27], 0 offen     // 00000000BF0C: E05C1000 8086983D
	v_mfma_f32_16x16x32_fp8_fp8 v[104:107], a[98:99], a[42:43], v[104:107]// 00000000BF14: D3F30068 1DA25562
	v_mfma_f32_16x16x32_fp8_fp8 v[104:107], a[100:101], a[44:45], v[104:107]// 00000000BF1C: D3F30068 1DA25964
	v_mfma_f32_16x16x32_fp8_fp8 v[104:107], a[102:103], a[46:47], v[104:107]// 00000000BF24: D3F30068 1DA25D66
	v_mfma_f32_16x16x32_fp8_fp8 v[124:127], a[104:105], a[40:41], v[124:127]// 00000000BF2C: D3F3007C 1DF25168
	buffer_load_dwordx4 a[156:159], v61, s[24:27], 0 offen offset:1024// 00000000BF34: E05C1400 80869C3D
	v_mfma_f32_16x16x32_fp8_fp8 v[124:127], a[106:107], a[42:43], v[124:127]// 00000000BF3C: D3F3007C 1DF2556A
	v_mfma_f32_16x16x32_fp8_fp8 v[124:127], a[108:109], a[44:45], v[124:127]// 00000000BF44: D3F3007C 1DF2596C
	v_mfma_f32_16x16x32_fp8_fp8 v[124:127], a[110:111], a[46:47], v[124:127]// 00000000BF4C: D3F3007C 1DF25D6E
	v_mfma_f32_16x16x32_fp8_fp8 v[68:71], a[80:81], a[48:49], v[68:71]// 00000000BF54: D3F30044 1D126150
	buffer_load_dwordx4 a[160:163], v62, s[24:27], 0 offen     // 00000000BF5C: E05C1000 8086A03E
	v_mfma_f32_16x16x32_fp8_fp8 v[68:71], a[82:83], a[50:51], v[68:71]// 00000000BF64: D3F30044 1D126552
	v_mfma_f32_16x16x32_fp8_fp8 v[68:71], a[84:85], a[52:53], v[68:71]// 00000000BF6C: D3F30044 1D126954
	v_mfma_f32_16x16x32_fp8_fp8 v[68:71], a[86:87], a[54:55], v[68:71]// 00000000BF74: D3F30044 1D126D56
	v_mfma_f32_16x16x32_fp8_fp8 v[88:91], a[88:89], a[48:49], v[88:91]// 00000000BF7C: D3F30058 1D626158
	buffer_load_dwordx4 a[164:167], v62, s[24:27], 0 offen offset:1024// 00000000BF84: E05C1400 8086A43E
	v_mfma_f32_16x16x32_fp8_fp8 v[88:91], a[90:91], a[50:51], v[88:91]// 00000000BF8C: D3F30058 1D62655A
	v_mfma_f32_16x16x32_fp8_fp8 v[88:91], a[92:93], a[52:53], v[88:91]// 00000000BF94: D3F30058 1D62695C
	v_mfma_f32_16x16x32_fp8_fp8 v[88:91], a[94:95], a[54:55], v[88:91]// 00000000BF9C: D3F30058 1D626D5E
	v_mfma_f32_16x16x32_fp8_fp8 v[108:111], a[96:97], a[48:49], v[108:111]// 00000000BFA4: D3F3006C 1DB26160
	buffer_load_dwordx4 a[168:171], v63, s[24:27], 0 offen     // 00000000BFAC: E05C1000 8086A83F
	v_mfma_f32_16x16x32_fp8_fp8 v[108:111], a[98:99], a[50:51], v[108:111]// 00000000BFB4: D3F3006C 1DB26562
	v_mfma_f32_16x16x32_fp8_fp8 v[108:111], a[100:101], a[52:53], v[108:111]// 00000000BFBC: D3F3006C 1DB26964
	v_mfma_f32_16x16x32_fp8_fp8 v[108:111], a[102:103], a[54:55], v[108:111]// 00000000BFC4: D3F3006C 1DB26D66
	v_mfma_f32_16x16x32_fp8_fp8 v[128:131], a[104:105], a[48:49], v[128:131]// 00000000BFCC: D3F30080 1E026168
	buffer_load_dwordx4 a[172:175], v63, s[24:27], 0 offen offset:1024// 00000000BFD4: E05C1400 8086AC3F
	buffer_load_dword v50, s[20:23], 0 offen lds               // 00000000BFDC: E0511000 80050032
	s_add_u32 m0, 0x100, s50                                   // 00000000BFE4: 807C32FF 00000100
	v_mfma_f32_16x16x32_fp8_fp8 v[128:131], a[106:107], a[50:51], v[128:131]// 00000000BFEC: D3F30080 1E02656A
	v_mfma_f32_16x16x32_fp8_fp8 v[128:131], a[108:109], a[52:53], v[128:131]// 00000000BFF4: D3F30080 1E02696C
	buffer_load_dword v51, s[20:23], 0 offen lds               // 00000000BFFC: E0511000 80050033
	s_add_u32 m0, 0x200, s50                                   // 00000000C004: 807C32FF 00000200
	v_mfma_f32_16x16x32_fp8_fp8 v[128:131], a[110:111], a[54:55], v[128:131]// 00000000C00C: D3F30080 1E026D6E
	v_mfma_f32_16x16x32_fp8_fp8 v[72:75], a[80:81], a[56:57], v[72:75]// 00000000C014: D3F30048 1D227150
	buffer_load_dword v52, s[20:23], 0 offen lds               // 00000000C01C: E0511000 80050034
	s_add_u32 m0, 0x300, s50                                   // 00000000C024: 807C32FF 00000300
	v_mfma_f32_16x16x32_fp8_fp8 v[72:75], a[82:83], a[58:59], v[72:75]// 00000000C02C: D3F30048 1D227552
	v_mfma_f32_16x16x32_fp8_fp8 v[72:75], a[84:85], a[60:61], v[72:75]// 00000000C034: D3F30048 1D227954
	buffer_load_dword v53, s[20:23], 0 offen lds               // 00000000C03C: E0511000 80050035
	s_add_u32 m0, 0x400, s50                                   // 00000000C044: 807C32FF 00000400
	v_mfma_f32_16x16x32_fp8_fp8 v[72:75], a[86:87], a[62:63], v[72:75]// 00000000C04C: D3F30048 1D227D56
	v_mfma_f32_16x16x32_fp8_fp8 v[92:95], a[88:89], a[56:57], v[92:95]// 00000000C054: D3F3005C 1D727158
	buffer_load_dword v54, s[20:23], 0 offen lds               // 00000000C05C: E0511000 80050036
	s_add_u32 m0, 0x500, s50                                   // 00000000C064: 807C32FF 00000500
	v_mfma_f32_16x16x32_fp8_fp8 v[92:95], a[90:91], a[58:59], v[92:95]// 00000000C06C: D3F3005C 1D72755A
	v_mfma_f32_16x16x32_fp8_fp8 v[92:95], a[92:93], a[60:61], v[92:95]// 00000000C074: D3F3005C 1D72795C
	buffer_load_dword v55, s[20:23], 0 offen lds               // 00000000C07C: E0511000 80050037
	s_add_u32 m0, 0x600, s50                                   // 00000000C084: 807C32FF 00000600
	v_mfma_f32_16x16x32_fp8_fp8 v[92:95], a[94:95], a[62:63], v[92:95]// 00000000C08C: D3F3005C 1D727D5E
	v_mfma_f32_16x16x32_fp8_fp8 v[112:115], a[96:97], a[56:57], v[112:115]// 00000000C094: D3F30070 1DC27160
	buffer_load_dword v56, s[20:23], 0 offen lds               // 00000000C09C: E0511000 80050038
	s_add_u32 m0, 0x700, s50                                   // 00000000C0A4: 807C32FF 00000700
	v_mfma_f32_16x16x32_fp8_fp8 v[112:115], a[98:99], a[58:59], v[112:115]// 00000000C0AC: D3F30070 1DC27562
	v_mfma_f32_16x16x32_fp8_fp8 v[112:115], a[100:101], a[60:61], v[112:115]// 00000000C0B4: D3F30070 1DC27964
	buffer_load_dword v57, s[20:23], 0 offen lds               // 00000000C0BC: E0511000 80050039
	s_add_u32 m0, 0x800, s50                                   // 00000000C0C4: 807C32FF 00000800
	v_mfma_f32_16x16x32_fp8_fp8 v[112:115], a[102:103], a[62:63], v[112:115]// 00000000C0CC: D3F30070 1DC27D66
	v_mfma_f32_16x16x32_fp8_fp8 v[132:135], a[104:105], a[56:57], v[132:135]// 00000000C0D4: D3F30084 1E127168
	buffer_load_dword v58, s[20:23], 0 offen lds               // 00000000C0DC: E0511000 8005003A
	s_add_u32 m0, 0x900, s50                                   // 00000000C0E4: 807C32FF 00000900
	v_mfma_f32_16x16x32_fp8_fp8 v[132:135], a[106:107], a[58:59], v[132:135]// 00000000C0EC: D3F30084 1E12756A
	v_mfma_f32_16x16x32_fp8_fp8 v[132:135], a[108:109], a[60:61], v[132:135]// 00000000C0F4: D3F30084 1E12796C
	buffer_load_dword v59, s[20:23], 0 offen lds               // 00000000C0FC: E0511000 8005003B
	s_add_u32 m0, 0, s48                                       // 00000000C104: 807C3080
	v_mfma_f32_16x16x32_fp8_fp8 v[132:135], a[110:111], a[62:63], v[132:135]// 00000000C108: D3F30084 1E127D6E
	v_mfma_f32_16x16x32_fp8_fp8 v[76:79], a[80:81], a[64:65], v[76:79]// 00000000C110: D3F3004C 1D328150
	v_mfma_f32_16x16x32_fp8_fp8 v[76:79], a[82:83], a[66:67], v[76:79]// 00000000C118: D3F3004C 1D328552
	v_mfma_f32_16x16x32_fp8_fp8 v[76:79], a[84:85], a[68:69], v[76:79]// 00000000C120: D3F3004C 1D328954
	v_mfma_f32_16x16x32_fp8_fp8 v[76:79], a[86:87], a[70:71], v[76:79]// 00000000C128: D3F3004C 1D328D56
	v_mfma_f32_16x16x32_fp8_fp8 v[96:99], a[88:89], a[64:65], v[96:99]// 00000000C130: D3F30060 1D828158
	v_mfma_f32_16x16x32_fp8_fp8 v[96:99], a[90:91], a[66:67], v[96:99]// 00000000C138: D3F30060 1D82855A
	v_mfma_f32_16x16x32_fp8_fp8 v[96:99], a[92:93], a[68:69], v[96:99]// 00000000C140: D3F30060 1D82895C
	v_mfma_f32_16x16x32_fp8_fp8 v[96:99], a[94:95], a[70:71], v[96:99]// 00000000C148: D3F30060 1D828D5E
	v_mfma_f32_16x16x32_fp8_fp8 v[116:119], a[96:97], a[64:65], v[116:119]// 00000000C150: D3F30074 1DD28160
	v_mfma_f32_16x16x32_fp8_fp8 v[116:119], a[98:99], a[66:67], v[116:119]// 00000000C158: D3F30074 1DD28562
	v_mfma_f32_16x16x32_fp8_fp8 v[116:119], a[100:101], a[68:69], v[116:119]// 00000000C160: D3F30074 1DD28964
	v_mfma_f32_16x16x32_fp8_fp8 v[116:119], a[102:103], a[70:71], v[116:119]// 00000000C168: D3F30074 1DD28D66
	v_mfma_f32_16x16x32_fp8_fp8 v[136:139], a[104:105], a[64:65], v[136:139]// 00000000C170: D3F30088 1E228168
	v_mfma_f32_16x16x32_fp8_fp8 v[136:139], a[106:107], a[66:67], v[136:139]// 00000000C178: D3F30088 1E22856A
	v_mfma_f32_16x16x32_fp8_fp8 v[136:139], a[108:109], a[68:69], v[136:139]// 00000000C180: D3F30088 1E22896C
	v_mfma_f32_16x16x32_fp8_fp8 v[136:139], a[110:111], a[70:71], v[136:139]// 00000000C188: D3F30088 1E228D6E
	v_mfma_f32_16x16x32_fp8_fp8 v[80:83], a[80:81], a[72:73], v[80:83]// 00000000C190: D3F30050 1D429150
	v_mfma_f32_16x16x32_fp8_fp8 v[80:83], a[82:83], a[74:75], v[80:83]// 00000000C198: D3F30050 1D429552
	v_mfma_f32_16x16x32_fp8_fp8 v[80:83], a[84:85], a[76:77], v[80:83]// 00000000C1A0: D3F30050 1D429954
	v_mfma_f32_16x16x32_fp8_fp8 v[80:83], a[86:87], a[78:79], v[80:83]// 00000000C1A8: D3F30050 1D429D56
	v_mfma_f32_16x16x32_fp8_fp8 v[100:103], a[88:89], a[72:73], v[100:103]// 00000000C1B0: D3F30064 1D929158
	v_mfma_f32_16x16x32_fp8_fp8 v[100:103], a[90:91], a[74:75], v[100:103]// 00000000C1B8: D3F30064 1D92955A
	v_mfma_f32_16x16x32_fp8_fp8 v[100:103], a[92:93], a[76:77], v[100:103]// 00000000C1C0: D3F30064 1D92995C
	v_mfma_f32_16x16x32_fp8_fp8 v[100:103], a[94:95], a[78:79], v[100:103]// 00000000C1C8: D3F30064 1D929D5E
	v_mfma_f32_16x16x32_fp8_fp8 v[120:123], a[96:97], a[72:73], v[120:123]// 00000000C1D0: D3F30078 1DE29160
	v_mfma_f32_16x16x32_fp8_fp8 v[120:123], a[98:99], a[74:75], v[120:123]// 00000000C1D8: D3F30078 1DE29562
	v_mfma_f32_16x16x32_fp8_fp8 v[120:123], a[100:101], a[76:77], v[120:123]// 00000000C1E0: D3F30078 1DE29964
	v_mfma_f32_16x16x32_fp8_fp8 v[120:123], a[102:103], a[78:79], v[120:123]// 00000000C1E8: D3F30078 1DE29D66
	v_mfma_f32_16x16x32_fp8_fp8 v[140:143], a[104:105], a[72:73], v[140:143]// 00000000C1F0: D3F3008C 1E329168
	v_mfma_f32_16x16x32_fp8_fp8 v[140:143], a[106:107], a[74:75], v[140:143]// 00000000C1F8: D3F3008C 1E32956A
	v_mfma_f32_16x16x32_fp8_fp8 v[140:143], a[108:109], a[76:77], v[140:143]// 00000000C200: D3F3008C 1E32996C
	v_mfma_f32_16x16x32_fp8_fp8 v[140:143], a[110:111], a[78:79], v[140:143]// 00000000C208: D3F3008C 1E329D6E
	s_waitcnt vmcnt(18)                                        // 00000000C210: BF8C4F72
	s_barrier                                                  // 00000000C214: BF8A0000
	v_mfma_f32_16x16x32_fp8_fp8 v[144:147], a[112:113], a[40:41], v[144:147]// 00000000C218: D3F30090 1E425170
	buffer_load_dwordx4 a[80:83], v60, s[84:87], 0 offen       // 00000000C220: E05C1000 8095503C
	v_mfma_f32_16x16x32_fp8_fp8 v[144:147], a[114:115], a[42:43], v[144:147]// 00000000C228: D3F30090 1E425572
	v_mfma_f32_16x16x32_fp8_fp8 v[144:147], a[116:117], a[44:45], v[144:147]// 00000000C230: D3F30090 1E425974
	ds_read_b128 a[0:3], v2 offset:10368                       // 00000000C238: DBFE2880 00000002
	ds_read_b128 a[4:7], v2 offset:10432                       // 00000000C240: DBFE28C0 04000002
	v_mfma_f32_16x16x32_fp8_fp8 v[144:147], a[118:119], a[46:47], v[144:147]// 00000000C248: D3F30090 1E425D76
	v_mfma_f32_16x16x32_fp8_fp8 v[164:167], a[120:121], a[40:41], v[164:167]// 00000000C250: D3F300A4 1E925178
	buffer_load_dwordx4 a[84:87], v60, s[84:87], 0 offen offset:1024// 00000000C258: E05C1400 8095543C
	v_mfma_f32_16x16x32_fp8_fp8 v[164:167], a[122:123], a[42:43], v[164:167]// 00000000C260: D3F300A4 1E92557A
	v_mfma_f32_16x16x32_fp8_fp8 v[164:167], a[124:125], a[44:45], v[164:167]// 00000000C268: D3F300A4 1E92597C
	ds_read_b128 a[8:11], v2 offset:10880                      // 00000000C270: DBFE2A80 08000002
	ds_read_b128 a[12:15], v2 offset:10944                     // 00000000C278: DBFE2AC0 0C000002
	v_mfma_f32_16x16x32_fp8_fp8 v[164:167], a[126:127], a[46:47], v[164:167]// 00000000C280: D3F300A4 1E925D7E
	v_mfma_f32_16x16x32_fp8_fp8 v[184:187], a[128:129], a[40:41], v[184:187]// 00000000C288: D3F300B8 1EE25180
	buffer_load_dwordx4 a[88:91], v61, s[84:87], 0 offen       // 00000000C290: E05C1000 8095583D
	v_mfma_f32_16x16x32_fp8_fp8 v[184:187], a[130:131], a[42:43], v[184:187]// 00000000C298: D3F300B8 1EE25582
	v_mfma_f32_16x16x32_fp8_fp8 v[184:187], a[132:133], a[44:45], v[184:187]// 00000000C2A0: D3F300B8 1EE25984
	ds_read_b128 a[16:19], v2 offset:11392                     // 00000000C2A8: DBFE2C80 10000002
	ds_read_b128 a[20:23], v2 offset:11456                     // 00000000C2B0: DBFE2CC0 14000002
	v_mfma_f32_16x16x32_fp8_fp8 v[184:187], a[134:135], a[46:47], v[184:187]// 00000000C2B8: D3F300B8 1EE25D86
	v_mfma_f32_16x16x32_fp8_fp8 v[204:207], a[136:137], a[40:41], v[204:207]// 00000000C2C0: D3F300CC 1F325188
	buffer_load_dwordx4 a[92:95], v61, s[84:87], 0 offen offset:1024// 00000000C2C8: E05C1400 80955C3D
	v_mfma_f32_16x16x32_fp8_fp8 v[204:207], a[138:139], a[42:43], v[204:207]// 00000000C2D0: D3F300CC 1F32558A
	v_mfma_f32_16x16x32_fp8_fp8 v[204:207], a[140:141], a[44:45], v[204:207]// 00000000C2D8: D3F300CC 1F32598C
	ds_read_b128 a[24:27], v2 offset:11904                     // 00000000C2E0: DBFE2E80 18000002
	ds_read_b128 a[28:31], v2 offset:11968                     // 00000000C2E8: DBFE2EC0 1C000002
	v_mfma_f32_16x16x32_fp8_fp8 v[204:207], a[142:143], a[46:47], v[204:207]// 00000000C2F0: D3F300CC 1F325D8E
	v_mfma_f32_16x16x32_fp8_fp8 v[148:151], a[112:113], a[48:49], v[148:151]// 00000000C2F8: D3F30094 1E526170
	buffer_load_dwordx4 a[96:99], v62, s[84:87], 0 offen       // 00000000C300: E05C1000 8095603E
	v_mfma_f32_16x16x32_fp8_fp8 v[148:151], a[114:115], a[50:51], v[148:151]// 00000000C308: D3F30094 1E526572
	v_mfma_f32_16x16x32_fp8_fp8 v[148:151], a[116:117], a[52:53], v[148:151]// 00000000C310: D3F30094 1E526974
	ds_read_b128 a[32:35], v2 offset:12416                     // 00000000C318: DBFE3080 20000002
	ds_read_b128 a[36:39], v2 offset:12480                     // 00000000C320: DBFE30C0 24000002
	v_mfma_f32_16x16x32_fp8_fp8 v[148:151], a[118:119], a[54:55], v[148:151]// 00000000C328: D3F30094 1E526D76
	v_mfma_f32_16x16x32_fp8_fp8 v[168:171], a[120:121], a[48:49], v[168:171]// 00000000C330: D3F300A8 1EA26178
	buffer_load_dwordx4 a[100:103], v62, s[84:87], 0 offen offset:1024// 00000000C338: E05C1400 8095643E
	v_mfma_f32_16x16x32_fp8_fp8 v[168:171], a[122:123], a[50:51], v[168:171]// 00000000C340: D3F300A8 1EA2657A
	v_mfma_f32_16x16x32_fp8_fp8 v[168:171], a[124:125], a[52:53], v[168:171]// 00000000C348: D3F300A8 1EA2697C
	v_mfma_f32_16x16x32_fp8_fp8 v[168:171], a[126:127], a[54:55], v[168:171]// 00000000C350: D3F300A8 1EA26D7E
	v_mfma_f32_16x16x32_fp8_fp8 v[188:191], a[128:129], a[48:49], v[188:191]// 00000000C358: D3F300BC 1EF26180
	buffer_load_dwordx4 a[104:107], v63, s[84:87], 0 offen     // 00000000C360: E05C1000 8095683F
	v_mfma_f32_16x16x32_fp8_fp8 v[188:191], a[130:131], a[50:51], v[188:191]// 00000000C368: D3F300BC 1EF26582
	v_mfma_f32_16x16x32_fp8_fp8 v[188:191], a[132:133], a[52:53], v[188:191]// 00000000C370: D3F300BC 1EF26984
	v_mfma_f32_16x16x32_fp8_fp8 v[188:191], a[134:135], a[54:55], v[188:191]// 00000000C378: D3F300BC 1EF26D86
	v_mfma_f32_16x16x32_fp8_fp8 v[208:211], a[136:137], a[48:49], v[208:211]// 00000000C380: D3F300D0 1F426188
	buffer_load_dwordx4 a[108:111], v63, s[84:87], 0 offen offset:1024// 00000000C388: E05C1400 80956C3F
	v_mfma_f32_16x16x32_fp8_fp8 v[208:211], a[138:139], a[50:51], v[208:211]// 00000000C390: D3F300D0 1F42658A
	v_mfma_f32_16x16x32_fp8_fp8 v[208:211], a[140:141], a[52:53], v[208:211]// 00000000C398: D3F300D0 1F42698C
	v_mfma_f32_16x16x32_fp8_fp8 v[208:211], a[142:143], a[54:55], v[208:211]// 00000000C3A0: D3F300D0 1F426D8E
	v_mfma_f32_16x16x32_fp8_fp8 v[152:155], a[112:113], a[56:57], v[152:155]// 00000000C3A8: D3F30098 1E627170
	v_mfma_f32_16x16x32_fp8_fp8 v[152:155], a[114:115], a[58:59], v[152:155]// 00000000C3B0: D3F30098 1E627572
	v_mfma_f32_16x16x32_fp8_fp8 v[152:155], a[116:117], a[60:61], v[152:155]// 00000000C3B8: D3F30098 1E627974
	v_mfma_f32_16x16x32_fp8_fp8 v[152:155], a[118:119], a[62:63], v[152:155]// 00000000C3C0: D3F30098 1E627D76
	v_mfma_f32_16x16x32_fp8_fp8 v[172:175], a[120:121], a[56:57], v[172:175]// 00000000C3C8: D3F300AC 1EB27178
	v_mfma_f32_16x16x32_fp8_fp8 v[172:175], a[122:123], a[58:59], v[172:175]// 00000000C3D0: D3F300AC 1EB2757A
	v_mfma_f32_16x16x32_fp8_fp8 v[172:175], a[124:125], a[60:61], v[172:175]// 00000000C3D8: D3F300AC 1EB2797C
	v_mfma_f32_16x16x32_fp8_fp8 v[172:175], a[126:127], a[62:63], v[172:175]// 00000000C3E0: D3F300AC 1EB27D7E
	v_mfma_f32_16x16x32_fp8_fp8 v[192:195], a[128:129], a[56:57], v[192:195]// 00000000C3E8: D3F300C0 1F027180
	v_mfma_f32_16x16x32_fp8_fp8 v[192:195], a[130:131], a[58:59], v[192:195]// 00000000C3F0: D3F300C0 1F027582
	v_mfma_f32_16x16x32_fp8_fp8 v[192:195], a[132:133], a[60:61], v[192:195]// 00000000C3F8: D3F300C0 1F027984
	v_mfma_f32_16x16x32_fp8_fp8 v[192:195], a[134:135], a[62:63], v[192:195]// 00000000C400: D3F300C0 1F027D86
	v_mfma_f32_16x16x32_fp8_fp8 v[212:215], a[136:137], a[56:57], v[212:215]// 00000000C408: D3F300D4 1F527188
	v_mfma_f32_16x16x32_fp8_fp8 v[212:215], a[138:139], a[58:59], v[212:215]// 00000000C410: D3F300D4 1F52758A
	v_mfma_f32_16x16x32_fp8_fp8 v[212:215], a[140:141], a[60:61], v[212:215]// 00000000C418: D3F300D4 1F52798C
	v_mfma_f32_16x16x32_fp8_fp8 v[212:215], a[142:143], a[62:63], v[212:215]// 00000000C420: D3F300D4 1F527D8E
	v_mfma_f32_16x16x32_fp8_fp8 v[156:159], a[112:113], a[64:65], v[156:159]// 00000000C428: D3F3009C 1E728170
	v_mfma_f32_16x16x32_fp8_fp8 v[156:159], a[114:115], a[66:67], v[156:159]// 00000000C430: D3F3009C 1E728572
	v_mfma_f32_16x16x32_fp8_fp8 v[156:159], a[116:117], a[68:69], v[156:159]// 00000000C438: D3F3009C 1E728974
	v_mfma_f32_16x16x32_fp8_fp8 v[156:159], a[118:119], a[70:71], v[156:159]// 00000000C440: D3F3009C 1E728D76
	v_mfma_f32_16x16x32_fp8_fp8 v[176:179], a[120:121], a[64:65], v[176:179]// 00000000C448: D3F300B0 1EC28178
	v_mfma_f32_16x16x32_fp8_fp8 v[176:179], a[122:123], a[66:67], v[176:179]// 00000000C450: D3F300B0 1EC2857A
	v_mfma_f32_16x16x32_fp8_fp8 v[176:179], a[124:125], a[68:69], v[176:179]// 00000000C458: D3F300B0 1EC2897C
	v_mfma_f32_16x16x32_fp8_fp8 v[176:179], a[126:127], a[70:71], v[176:179]// 00000000C460: D3F300B0 1EC28D7E
	v_mfma_f32_16x16x32_fp8_fp8 v[196:199], a[128:129], a[64:65], v[196:199]// 00000000C468: D3F300C4 1F128180
	v_mfma_f32_16x16x32_fp8_fp8 v[196:199], a[130:131], a[66:67], v[196:199]// 00000000C470: D3F300C4 1F128582
	v_mfma_f32_16x16x32_fp8_fp8 v[196:199], a[132:133], a[68:69], v[196:199]// 00000000C478: D3F300C4 1F128984
	v_mfma_f32_16x16x32_fp8_fp8 v[196:199], a[134:135], a[70:71], v[196:199]// 00000000C480: D3F300C4 1F128D86
	v_mfma_f32_16x16x32_fp8_fp8 v[216:219], a[136:137], a[64:65], v[216:219]// 00000000C488: D3F300D8 1F628188
	v_mfma_f32_16x16x32_fp8_fp8 v[216:219], a[138:139], a[66:67], v[216:219]// 00000000C490: D3F300D8 1F62858A
	v_mfma_f32_16x16x32_fp8_fp8 v[216:219], a[140:141], a[68:69], v[216:219]// 00000000C498: D3F300D8 1F62898C
	v_mfma_f32_16x16x32_fp8_fp8 v[216:219], a[142:143], a[70:71], v[216:219]// 00000000C4A0: D3F300D8 1F628D8E
	v_mfma_f32_16x16x32_fp8_fp8 v[160:163], a[112:113], a[72:73], v[160:163]// 00000000C4A8: D3F300A0 1E829170
	v_mfma_f32_16x16x32_fp8_fp8 v[160:163], a[114:115], a[74:75], v[160:163]// 00000000C4B0: D3F300A0 1E829572
	v_mfma_f32_16x16x32_fp8_fp8 v[160:163], a[116:117], a[76:77], v[160:163]// 00000000C4B8: D3F300A0 1E829974
	v_mfma_f32_16x16x32_fp8_fp8 v[160:163], a[118:119], a[78:79], v[160:163]// 00000000C4C0: D3F300A0 1E829D76
	v_mfma_f32_16x16x32_fp8_fp8 v[180:183], a[120:121], a[72:73], v[180:183]// 00000000C4C8: D3F300B4 1ED29178
	v_mfma_f32_16x16x32_fp8_fp8 v[180:183], a[122:123], a[74:75], v[180:183]// 00000000C4D0: D3F300B4 1ED2957A
	v_mfma_f32_16x16x32_fp8_fp8 v[180:183], a[124:125], a[76:77], v[180:183]// 00000000C4D8: D3F300B4 1ED2997C
	v_mfma_f32_16x16x32_fp8_fp8 v[180:183], a[126:127], a[78:79], v[180:183]// 00000000C4E0: D3F300B4 1ED29D7E
	v_mfma_f32_16x16x32_fp8_fp8 v[200:203], a[128:129], a[72:73], v[200:203]// 00000000C4E8: D3F300C8 1F229180
	s_add_u32 s60, 0x180, s80                                  // 00000000C4F0: 803C50FF 00000180
	s_cmp_lt_u32 s60, s81                                      // 00000000C4F8: BF0A513C
	s_cselect_b32 s57, s57, 0                                  // 00000000C4FC: 85398039
	v_mfma_f32_16x16x32_fp8_fp8 v[200:203], a[130:131], a[74:75], v[200:203]// 00000000C500: D3F300C8 1F229582
	s_add_u32 s60, 0x100, s80                                  // 00000000C508: 803C50FF 00000100
	s_cmp_lt_u32 s60, s81                                      // 00000000C510: BF0A513C
	s_cselect_b32 s58, s58, 0                                  // 00000000C514: 853A803A
	v_mfma_f32_16x16x32_fp8_fp8 v[200:203], a[132:133], a[76:77], v[200:203]// 00000000C518: D3F300C8 1F229984
	s_add_u32 s60, 0x100, s80                                  // 00000000C520: 803C50FF 00000100
	s_cmp_lt_u32 s60, s81                                      // 00000000C528: BF0A513C
	s_cselect_b32 s83, s83, 0                                  // 00000000C52C: 85538053
	v_mfma_f32_16x16x32_fp8_fp8 v[200:203], a[134:135], a[78:79], v[200:203]// 00000000C530: D3F300C8 1F229D86
	s_add_u32 s24, s58, s24                                    // 00000000C538: 8018183A
	s_addc_u32 s25, 0, s25                                     // 00000000C53C: 82191980
	v_mfma_f32_16x16x32_fp8_fp8 v[220:223], a[136:137], a[72:73], v[220:223]// 00000000C540: D3F300DC 1F729188
	s_add_u32 s20, s57, s20                                    // 00000000C548: 80141439
	s_addc_u32 s21, 0, s21                                     // 00000000C54C: 82151580
	v_mfma_f32_16x16x32_fp8_fp8 v[220:223], a[138:139], a[74:75], v[220:223]// 00000000C550: D3F300DC 1F72958A
	s_add_u32 s84, s83, s84                                    // 00000000C558: 80545453
	s_addc_u32 s85, 0, s85                                     // 00000000C55C: 82555580
	v_mfma_f32_16x16x32_fp8_fp8 v[220:223], a[140:141], a[76:77], v[220:223]// 00000000C560: D3F300DC 1F72998C
	v_mfma_f32_16x16x32_fp8_fp8 v[220:223], a[142:143], a[78:79], v[220:223]// 00000000C568: D3F300DC 1F729D8E
	s_addk_i32 s80, 0x80                                       // 00000000C570: B7500080
	s_cmp_lt_i32 s80, s81                                      // 00000000C574: BF045150
	s_cbranch_scc0 label_2A49                                  // 00000000C578: BF840367
	s_waitcnt vmcnt(18) lgkmcnt(0)                             // 00000000C57C: BF8C4072
	v_mfma_f32_16x16x32_fp8_fp8 v[64:67], a[144:145], a[0:1], v[64:67]// 00000000C580: D3F30040 1D020190
	buffer_load_dwordx4 a[112:115], v60, s[24:27], 0 offen     // 00000000C588: E05C1000 8086703C
	v_mfma_f32_16x16x32_fp8_fp8 v[64:67], a[146:147], a[2:3], v[64:67]// 00000000C590: D3F30040 1D020592
	v_mfma_f32_16x16x32_fp8_fp8 v[64:67], a[148:149], a[4:5], v[64:67]// 00000000C598: D3F30040 1D020994
	v_mfma_f32_16x16x32_fp8_fp8 v[64:67], a[150:151], a[6:7], v[64:67]// 00000000C5A0: D3F30040 1D020D96
	v_mfma_f32_16x16x32_fp8_fp8 v[84:87], a[152:153], a[0:1], v[84:87]// 00000000C5A8: D3F30054 1D520198
	buffer_load_dwordx4 a[116:119], v60, s[24:27], 0 offen offset:1024// 00000000C5B0: E05C1400 8086743C
	v_mfma_f32_16x16x32_fp8_fp8 v[84:87], a[154:155], a[2:3], v[84:87]// 00000000C5B8: D3F30054 1D52059A
	v_mfma_f32_16x16x32_fp8_fp8 v[84:87], a[156:157], a[4:5], v[84:87]// 00000000C5C0: D3F30054 1D52099C
	v_mfma_f32_16x16x32_fp8_fp8 v[84:87], a[158:159], a[6:7], v[84:87]// 00000000C5C8: D3F30054 1D520D9E
	v_mfma_f32_16x16x32_fp8_fp8 v[104:107], a[160:161], a[0:1], v[104:107]// 00000000C5D0: D3F30068 1DA201A0
	buffer_load_dwordx4 a[120:123], v61, s[24:27], 0 offen     // 00000000C5D8: E05C1000 8086783D
	v_mfma_f32_16x16x32_fp8_fp8 v[104:107], a[162:163], a[2:3], v[104:107]// 00000000C5E0: D3F30068 1DA205A2
	v_mfma_f32_16x16x32_fp8_fp8 v[104:107], a[164:165], a[4:5], v[104:107]// 00000000C5E8: D3F30068 1DA209A4
	v_mfma_f32_16x16x32_fp8_fp8 v[104:107], a[166:167], a[6:7], v[104:107]// 00000000C5F0: D3F30068 1DA20DA6
	v_mfma_f32_16x16x32_fp8_fp8 v[124:127], a[168:169], a[0:1], v[124:127]// 00000000C5F8: D3F3007C 1DF201A8
	buffer_load_dwordx4 a[124:127], v61, s[24:27], 0 offen offset:1024// 00000000C600: E05C1400 80867C3D
	v_mfma_f32_16x16x32_fp8_fp8 v[124:127], a[170:171], a[2:3], v[124:127]// 00000000C608: D3F3007C 1DF205AA
	v_mfma_f32_16x16x32_fp8_fp8 v[124:127], a[172:173], a[4:5], v[124:127]// 00000000C610: D3F3007C 1DF209AC
	v_mfma_f32_16x16x32_fp8_fp8 v[124:127], a[174:175], a[6:7], v[124:127]// 00000000C618: D3F3007C 1DF20DAE
	v_mfma_f32_16x16x32_fp8_fp8 v[68:71], a[144:145], a[8:9], v[68:71]// 00000000C620: D3F30044 1D121190
	buffer_load_dwordx4 a[128:131], v62, s[24:27], 0 offen     // 00000000C628: E05C1000 8086803E
	v_mfma_f32_16x16x32_fp8_fp8 v[68:71], a[146:147], a[10:11], v[68:71]// 00000000C630: D3F30044 1D121592
	v_mfma_f32_16x16x32_fp8_fp8 v[68:71], a[148:149], a[12:13], v[68:71]// 00000000C638: D3F30044 1D121994
	v_mfma_f32_16x16x32_fp8_fp8 v[68:71], a[150:151], a[14:15], v[68:71]// 00000000C640: D3F30044 1D121D96
	v_mfma_f32_16x16x32_fp8_fp8 v[88:91], a[152:153], a[8:9], v[88:91]// 00000000C648: D3F30058 1D621198
	buffer_load_dwordx4 a[132:135], v62, s[24:27], 0 offen offset:1024// 00000000C650: E05C1400 8086843E
	v_mfma_f32_16x16x32_fp8_fp8 v[88:91], a[154:155], a[10:11], v[88:91]// 00000000C658: D3F30058 1D62159A
	v_mfma_f32_16x16x32_fp8_fp8 v[88:91], a[156:157], a[12:13], v[88:91]// 00000000C660: D3F30058 1D62199C
	v_mfma_f32_16x16x32_fp8_fp8 v[88:91], a[158:159], a[14:15], v[88:91]// 00000000C668: D3F30058 1D621D9E
	v_mfma_f32_16x16x32_fp8_fp8 v[108:111], a[160:161], a[8:9], v[108:111]// 00000000C670: D3F3006C 1DB211A0
	buffer_load_dwordx4 a[136:139], v63, s[24:27], 0 offen     // 00000000C678: E05C1000 8086883F
	v_mfma_f32_16x16x32_fp8_fp8 v[108:111], a[162:163], a[10:11], v[108:111]// 00000000C680: D3F3006C 1DB215A2
	v_mfma_f32_16x16x32_fp8_fp8 v[108:111], a[164:165], a[12:13], v[108:111]// 00000000C688: D3F3006C 1DB219A4
	v_mfma_f32_16x16x32_fp8_fp8 v[108:111], a[166:167], a[14:15], v[108:111]// 00000000C690: D3F3006C 1DB21DA6
	v_mfma_f32_16x16x32_fp8_fp8 v[128:131], a[168:169], a[8:9], v[128:131]// 00000000C698: D3F30080 1E0211A8
	buffer_load_dwordx4 a[140:143], v63, s[24:27], 0 offen offset:1024// 00000000C6A0: E05C1400 80868C3F
	buffer_load_dword v50, s[20:23], 0 offen lds               // 00000000C6A8: E0511000 80050032
	s_add_u32 m0, 0x100, s48                                   // 00000000C6B0: 807C30FF 00000100
	v_mfma_f32_16x16x32_fp8_fp8 v[128:131], a[170:171], a[10:11], v[128:131]// 00000000C6B8: D3F30080 1E0215AA
	v_mfma_f32_16x16x32_fp8_fp8 v[128:131], a[172:173], a[12:13], v[128:131]// 00000000C6C0: D3F30080 1E0219AC
	buffer_load_dword v51, s[20:23], 0 offen lds               // 00000000C6C8: E0511000 80050033
	s_add_u32 m0, 0x200, s48                                   // 00000000C6D0: 807C30FF 00000200
	v_mfma_f32_16x16x32_fp8_fp8 v[128:131], a[174:175], a[14:15], v[128:131]// 00000000C6D8: D3F30080 1E021DAE
	v_mfma_f32_16x16x32_fp8_fp8 v[72:75], a[144:145], a[16:17], v[72:75]// 00000000C6E0: D3F30048 1D222190
	buffer_load_dword v52, s[20:23], 0 offen lds               // 00000000C6E8: E0511000 80050034
	s_add_u32 m0, 0x300, s48                                   // 00000000C6F0: 807C30FF 00000300
	v_mfma_f32_16x16x32_fp8_fp8 v[72:75], a[146:147], a[18:19], v[72:75]// 00000000C6F8: D3F30048 1D222592
	v_mfma_f32_16x16x32_fp8_fp8 v[72:75], a[148:149], a[20:21], v[72:75]// 00000000C700: D3F30048 1D222994
	buffer_load_dword v53, s[20:23], 0 offen lds               // 00000000C708: E0511000 80050035
	s_add_u32 m0, 0x400, s48                                   // 00000000C710: 807C30FF 00000400
	v_mfma_f32_16x16x32_fp8_fp8 v[72:75], a[150:151], a[22:23], v[72:75]// 00000000C718: D3F30048 1D222D96
	v_mfma_f32_16x16x32_fp8_fp8 v[92:95], a[152:153], a[16:17], v[92:95]// 00000000C720: D3F3005C 1D722198
	buffer_load_dword v54, s[20:23], 0 offen lds               // 00000000C728: E0511000 80050036
	s_add_u32 m0, 0x500, s48                                   // 00000000C730: 807C30FF 00000500
	v_mfma_f32_16x16x32_fp8_fp8 v[92:95], a[154:155], a[18:19], v[92:95]// 00000000C738: D3F3005C 1D72259A
	v_mfma_f32_16x16x32_fp8_fp8 v[92:95], a[156:157], a[20:21], v[92:95]// 00000000C740: D3F3005C 1D72299C
	buffer_load_dword v55, s[20:23], 0 offen lds               // 00000000C748: E0511000 80050037
	s_add_u32 m0, 0x600, s48                                   // 00000000C750: 807C30FF 00000600
	v_mfma_f32_16x16x32_fp8_fp8 v[92:95], a[158:159], a[22:23], v[92:95]// 00000000C758: D3F3005C 1D722D9E
	v_mfma_f32_16x16x32_fp8_fp8 v[112:115], a[160:161], a[16:17], v[112:115]// 00000000C760: D3F30070 1DC221A0
	buffer_load_dword v56, s[20:23], 0 offen lds               // 00000000C768: E0511000 80050038
	s_add_u32 m0, 0x700, s48                                   // 00000000C770: 807C30FF 00000700
	v_mfma_f32_16x16x32_fp8_fp8 v[112:115], a[162:163], a[18:19], v[112:115]// 00000000C778: D3F30070 1DC225A2
	v_mfma_f32_16x16x32_fp8_fp8 v[112:115], a[164:165], a[20:21], v[112:115]// 00000000C780: D3F30070 1DC229A4
	buffer_load_dword v57, s[20:23], 0 offen lds               // 00000000C788: E0511000 80050039
	s_add_u32 m0, 0x800, s48                                   // 00000000C790: 807C30FF 00000800
	v_mfma_f32_16x16x32_fp8_fp8 v[112:115], a[166:167], a[22:23], v[112:115]// 00000000C798: D3F30070 1DC22DA6
	v_mfma_f32_16x16x32_fp8_fp8 v[132:135], a[168:169], a[16:17], v[132:135]// 00000000C7A0: D3F30084 1E1221A8
	buffer_load_dword v58, s[20:23], 0 offen lds               // 00000000C7A8: E0511000 8005003A
	s_add_u32 m0, 0x900, s48                                   // 00000000C7B0: 807C30FF 00000900
	v_mfma_f32_16x16x32_fp8_fp8 v[132:135], a[170:171], a[18:19], v[132:135]// 00000000C7B8: D3F30084 1E1225AA
	v_mfma_f32_16x16x32_fp8_fp8 v[132:135], a[172:173], a[20:21], v[132:135]// 00000000C7C0: D3F30084 1E1229AC
	buffer_load_dword v59, s[20:23], 0 offen lds               // 00000000C7C8: E0511000 8005003B
	s_add_u32 m0, 0, s49                                       // 00000000C7D0: 807C3180
	v_mfma_f32_16x16x32_fp8_fp8 v[132:135], a[174:175], a[22:23], v[132:135]// 00000000C7D4: D3F30084 1E122DAE
	v_mfma_f32_16x16x32_fp8_fp8 v[76:79], a[144:145], a[24:25], v[76:79]// 00000000C7DC: D3F3004C 1D323190
	v_mfma_f32_16x16x32_fp8_fp8 v[76:79], a[146:147], a[26:27], v[76:79]// 00000000C7E4: D3F3004C 1D323592
	v_mfma_f32_16x16x32_fp8_fp8 v[76:79], a[148:149], a[28:29], v[76:79]// 00000000C7EC: D3F3004C 1D323994
	v_mfma_f32_16x16x32_fp8_fp8 v[76:79], a[150:151], a[30:31], v[76:79]// 00000000C7F4: D3F3004C 1D323D96
	v_mfma_f32_16x16x32_fp8_fp8 v[96:99], a[152:153], a[24:25], v[96:99]// 00000000C7FC: D3F30060 1D823198
	v_mfma_f32_16x16x32_fp8_fp8 v[96:99], a[154:155], a[26:27], v[96:99]// 00000000C804: D3F30060 1D82359A
	v_mfma_f32_16x16x32_fp8_fp8 v[96:99], a[156:157], a[28:29], v[96:99]// 00000000C80C: D3F30060 1D82399C
	v_mfma_f32_16x16x32_fp8_fp8 v[96:99], a[158:159], a[30:31], v[96:99]// 00000000C814: D3F30060 1D823D9E
	v_mfma_f32_16x16x32_fp8_fp8 v[116:119], a[160:161], a[24:25], v[116:119]// 00000000C81C: D3F30074 1DD231A0
	v_mfma_f32_16x16x32_fp8_fp8 v[116:119], a[162:163], a[26:27], v[116:119]// 00000000C824: D3F30074 1DD235A2
	v_mfma_f32_16x16x32_fp8_fp8 v[116:119], a[164:165], a[28:29], v[116:119]// 00000000C82C: D3F30074 1DD239A4
	v_mfma_f32_16x16x32_fp8_fp8 v[116:119], a[166:167], a[30:31], v[116:119]// 00000000C834: D3F30074 1DD23DA6
	v_mfma_f32_16x16x32_fp8_fp8 v[136:139], a[168:169], a[24:25], v[136:139]// 00000000C83C: D3F30088 1E2231A8
	v_mfma_f32_16x16x32_fp8_fp8 v[136:139], a[170:171], a[26:27], v[136:139]// 00000000C844: D3F30088 1E2235AA
	v_mfma_f32_16x16x32_fp8_fp8 v[136:139], a[172:173], a[28:29], v[136:139]// 00000000C84C: D3F30088 1E2239AC
	v_mfma_f32_16x16x32_fp8_fp8 v[136:139], a[174:175], a[30:31], v[136:139]// 00000000C854: D3F30088 1E223DAE
	v_mfma_f32_16x16x32_fp8_fp8 v[80:83], a[144:145], a[32:33], v[80:83]// 00000000C85C: D3F30050 1D424190
	v_mfma_f32_16x16x32_fp8_fp8 v[80:83], a[146:147], a[34:35], v[80:83]// 00000000C864: D3F30050 1D424592
	v_mfma_f32_16x16x32_fp8_fp8 v[80:83], a[148:149], a[36:37], v[80:83]// 00000000C86C: D3F30050 1D424994
	v_mfma_f32_16x16x32_fp8_fp8 v[80:83], a[150:151], a[38:39], v[80:83]// 00000000C874: D3F30050 1D424D96
	v_mfma_f32_16x16x32_fp8_fp8 v[100:103], a[152:153], a[32:33], v[100:103]// 00000000C87C: D3F30064 1D924198
	v_mfma_f32_16x16x32_fp8_fp8 v[100:103], a[154:155], a[34:35], v[100:103]// 00000000C884: D3F30064 1D92459A
	v_mfma_f32_16x16x32_fp8_fp8 v[100:103], a[156:157], a[36:37], v[100:103]// 00000000C88C: D3F30064 1D92499C
	v_mfma_f32_16x16x32_fp8_fp8 v[100:103], a[158:159], a[38:39], v[100:103]// 00000000C894: D3F30064 1D924D9E
	v_mfma_f32_16x16x32_fp8_fp8 v[120:123], a[160:161], a[32:33], v[120:123]// 00000000C89C: D3F30078 1DE241A0
	v_mfma_f32_16x16x32_fp8_fp8 v[120:123], a[162:163], a[34:35], v[120:123]// 00000000C8A4: D3F30078 1DE245A2
	v_mfma_f32_16x16x32_fp8_fp8 v[120:123], a[164:165], a[36:37], v[120:123]// 00000000C8AC: D3F30078 1DE249A4
	v_mfma_f32_16x16x32_fp8_fp8 v[120:123], a[166:167], a[38:39], v[120:123]// 00000000C8B4: D3F30078 1DE24DA6
	v_mfma_f32_16x16x32_fp8_fp8 v[140:143], a[168:169], a[32:33], v[140:143]// 00000000C8BC: D3F3008C 1E3241A8
	v_mfma_f32_16x16x32_fp8_fp8 v[140:143], a[170:171], a[34:35], v[140:143]// 00000000C8C4: D3F3008C 1E3245AA
	v_mfma_f32_16x16x32_fp8_fp8 v[140:143], a[172:173], a[36:37], v[140:143]// 00000000C8CC: D3F3008C 1E3249AC
	v_mfma_f32_16x16x32_fp8_fp8 v[140:143], a[174:175], a[38:39], v[140:143]// 00000000C8D4: D3F3008C 1E324DAE
	s_waitcnt vmcnt(18)                                        // 00000000C8DC: BF8C4F72
	s_barrier                                                  // 00000000C8E0: BF8A0000
	v_mfma_f32_16x16x32_fp8_fp8 v[144:147], a[80:81], a[0:1], v[144:147]// 00000000C8E4: D3F30090 1E420150
	buffer_load_dwordx4 a[144:147], v60, s[84:87], 0 offen     // 00000000C8EC: E05C1000 8095903C
	v_mfma_f32_16x16x32_fp8_fp8 v[144:147], a[82:83], a[2:3], v[144:147]// 00000000C8F4: D3F30090 1E420552
	v_mfma_f32_16x16x32_fp8_fp8 v[144:147], a[84:85], a[4:5], v[144:147]// 00000000C8FC: D3F30090 1E420954
	ds_read_b128 a[40:43], v2 offset:20736                     // 00000000C904: DBFE5100 28000002
	ds_read_b128 a[44:47], v2 offset:20800                     // 00000000C90C: DBFE5140 2C000002
	v_mfma_f32_16x16x32_fp8_fp8 v[144:147], a[86:87], a[6:7], v[144:147]// 00000000C914: D3F30090 1E420D56
	v_mfma_f32_16x16x32_fp8_fp8 v[164:167], a[88:89], a[0:1], v[164:167]// 00000000C91C: D3F300A4 1E920158
	buffer_load_dwordx4 a[148:151], v60, s[84:87], 0 offen offset:1024// 00000000C924: E05C1400 8095943C
	v_mfma_f32_16x16x32_fp8_fp8 v[164:167], a[90:91], a[2:3], v[164:167]// 00000000C92C: D3F300A4 1E92055A
	v_mfma_f32_16x16x32_fp8_fp8 v[164:167], a[92:93], a[4:5], v[164:167]// 00000000C934: D3F300A4 1E92095C
	ds_read_b128 a[48:51], v2 offset:21248                     // 00000000C93C: DBFE5300 30000002
	ds_read_b128 a[52:55], v2 offset:21312                     // 00000000C944: DBFE5340 34000002
	v_mfma_f32_16x16x32_fp8_fp8 v[164:167], a[94:95], a[6:7], v[164:167]// 00000000C94C: D3F300A4 1E920D5E
	v_mfma_f32_16x16x32_fp8_fp8 v[184:187], a[96:97], a[0:1], v[184:187]// 00000000C954: D3F300B8 1EE20160
	buffer_load_dwordx4 a[152:155], v61, s[84:87], 0 offen     // 00000000C95C: E05C1000 8095983D
	v_mfma_f32_16x16x32_fp8_fp8 v[184:187], a[98:99], a[2:3], v[184:187]// 00000000C964: D3F300B8 1EE20562
	v_mfma_f32_16x16x32_fp8_fp8 v[184:187], a[100:101], a[4:5], v[184:187]// 00000000C96C: D3F300B8 1EE20964
	ds_read_b128 a[56:59], v2 offset:21760                     // 00000000C974: DBFE5500 38000002
	ds_read_b128 a[60:63], v2 offset:21824                     // 00000000C97C: DBFE5540 3C000002
	v_mfma_f32_16x16x32_fp8_fp8 v[184:187], a[102:103], a[6:7], v[184:187]// 00000000C984: D3F300B8 1EE20D66
	v_mfma_f32_16x16x32_fp8_fp8 v[204:207], a[104:105], a[0:1], v[204:207]// 00000000C98C: D3F300CC 1F320168
	buffer_load_dwordx4 a[156:159], v61, s[84:87], 0 offen offset:1024// 00000000C994: E05C1400 80959C3D
	v_mfma_f32_16x16x32_fp8_fp8 v[204:207], a[106:107], a[2:3], v[204:207]// 00000000C99C: D3F300CC 1F32056A
	v_mfma_f32_16x16x32_fp8_fp8 v[204:207], a[108:109], a[4:5], v[204:207]// 00000000C9A4: D3F300CC 1F32096C
	ds_read_b128 a[64:67], v2 offset:22272                     // 00000000C9AC: DBFE5700 40000002
	ds_read_b128 a[68:71], v2 offset:22336                     // 00000000C9B4: DBFE5740 44000002
	v_mfma_f32_16x16x32_fp8_fp8 v[204:207], a[110:111], a[6:7], v[204:207]// 00000000C9BC: D3F300CC 1F320D6E
	v_mfma_f32_16x16x32_fp8_fp8 v[148:151], a[80:81], a[8:9], v[148:151]// 00000000C9C4: D3F30094 1E521150
	buffer_load_dwordx4 a[160:163], v62, s[84:87], 0 offen     // 00000000C9CC: E05C1000 8095A03E
	v_mfma_f32_16x16x32_fp8_fp8 v[148:151], a[82:83], a[10:11], v[148:151]// 00000000C9D4: D3F30094 1E521552
	v_mfma_f32_16x16x32_fp8_fp8 v[148:151], a[84:85], a[12:13], v[148:151]// 00000000C9DC: D3F30094 1E521954
	ds_read_b128 a[72:75], v2 offset:22784                     // 00000000C9E4: DBFE5900 48000002
	ds_read_b128 a[76:79], v2 offset:22848                     // 00000000C9EC: DBFE5940 4C000002
	v_mfma_f32_16x16x32_fp8_fp8 v[148:151], a[86:87], a[14:15], v[148:151]// 00000000C9F4: D3F30094 1E521D56
	v_mfma_f32_16x16x32_fp8_fp8 v[168:171], a[88:89], a[8:9], v[168:171]// 00000000C9FC: D3F300A8 1EA21158
	buffer_load_dwordx4 a[164:167], v62, s[84:87], 0 offen offset:1024// 00000000CA04: E05C1400 8095A43E
	v_mfma_f32_16x16x32_fp8_fp8 v[168:171], a[90:91], a[10:11], v[168:171]// 00000000CA0C: D3F300A8 1EA2155A
	v_mfma_f32_16x16x32_fp8_fp8 v[168:171], a[92:93], a[12:13], v[168:171]// 00000000CA14: D3F300A8 1EA2195C
	v_mfma_f32_16x16x32_fp8_fp8 v[168:171], a[94:95], a[14:15], v[168:171]// 00000000CA1C: D3F300A8 1EA21D5E
	v_mfma_f32_16x16x32_fp8_fp8 v[188:191], a[96:97], a[8:9], v[188:191]// 00000000CA24: D3F300BC 1EF21160
	buffer_load_dwordx4 a[168:171], v63, s[84:87], 0 offen     // 00000000CA2C: E05C1000 8095A83F
	v_mfma_f32_16x16x32_fp8_fp8 v[188:191], a[98:99], a[10:11], v[188:191]// 00000000CA34: D3F300BC 1EF21562
	v_mfma_f32_16x16x32_fp8_fp8 v[188:191], a[100:101], a[12:13], v[188:191]// 00000000CA3C: D3F300BC 1EF21964
	v_mfma_f32_16x16x32_fp8_fp8 v[188:191], a[102:103], a[14:15], v[188:191]// 00000000CA44: D3F300BC 1EF21D66
	v_mfma_f32_16x16x32_fp8_fp8 v[208:211], a[104:105], a[8:9], v[208:211]// 00000000CA4C: D3F300D0 1F421168
	buffer_load_dwordx4 a[172:175], v63, s[84:87], 0 offen offset:1024// 00000000CA54: E05C1400 8095AC3F
	v_mfma_f32_16x16x32_fp8_fp8 v[208:211], a[106:107], a[10:11], v[208:211]// 00000000CA5C: D3F300D0 1F42156A
	v_mfma_f32_16x16x32_fp8_fp8 v[208:211], a[108:109], a[12:13], v[208:211]// 00000000CA64: D3F300D0 1F42196C
	v_mfma_f32_16x16x32_fp8_fp8 v[208:211], a[110:111], a[14:15], v[208:211]// 00000000CA6C: D3F300D0 1F421D6E
	v_mfma_f32_16x16x32_fp8_fp8 v[152:155], a[80:81], a[16:17], v[152:155]// 00000000CA74: D3F30098 1E622150
	v_mfma_f32_16x16x32_fp8_fp8 v[152:155], a[82:83], a[18:19], v[152:155]// 00000000CA7C: D3F30098 1E622552
	v_mfma_f32_16x16x32_fp8_fp8 v[152:155], a[84:85], a[20:21], v[152:155]// 00000000CA84: D3F30098 1E622954
	v_mfma_f32_16x16x32_fp8_fp8 v[152:155], a[86:87], a[22:23], v[152:155]// 00000000CA8C: D3F30098 1E622D56
	v_mfma_f32_16x16x32_fp8_fp8 v[172:175], a[88:89], a[16:17], v[172:175]// 00000000CA94: D3F300AC 1EB22158
	v_mfma_f32_16x16x32_fp8_fp8 v[172:175], a[90:91], a[18:19], v[172:175]// 00000000CA9C: D3F300AC 1EB2255A
	v_mfma_f32_16x16x32_fp8_fp8 v[172:175], a[92:93], a[20:21], v[172:175]// 00000000CAA4: D3F300AC 1EB2295C
	v_mfma_f32_16x16x32_fp8_fp8 v[172:175], a[94:95], a[22:23], v[172:175]// 00000000CAAC: D3F300AC 1EB22D5E
	v_mfma_f32_16x16x32_fp8_fp8 v[192:195], a[96:97], a[16:17], v[192:195]// 00000000CAB4: D3F300C0 1F022160
	v_mfma_f32_16x16x32_fp8_fp8 v[192:195], a[98:99], a[18:19], v[192:195]// 00000000CABC: D3F300C0 1F022562
	v_mfma_f32_16x16x32_fp8_fp8 v[192:195], a[100:101], a[20:21], v[192:195]// 00000000CAC4: D3F300C0 1F022964
	v_mfma_f32_16x16x32_fp8_fp8 v[192:195], a[102:103], a[22:23], v[192:195]// 00000000CACC: D3F300C0 1F022D66
	v_mfma_f32_16x16x32_fp8_fp8 v[212:215], a[104:105], a[16:17], v[212:215]// 00000000CAD4: D3F300D4 1F522168
	v_mfma_f32_16x16x32_fp8_fp8 v[212:215], a[106:107], a[18:19], v[212:215]// 00000000CADC: D3F300D4 1F52256A
	v_mfma_f32_16x16x32_fp8_fp8 v[212:215], a[108:109], a[20:21], v[212:215]// 00000000CAE4: D3F300D4 1F52296C
	v_mfma_f32_16x16x32_fp8_fp8 v[212:215], a[110:111], a[22:23], v[212:215]// 00000000CAEC: D3F300D4 1F522D6E
	v_mfma_f32_16x16x32_fp8_fp8 v[156:159], a[80:81], a[24:25], v[156:159]// 00000000CAF4: D3F3009C 1E723150
	v_mfma_f32_16x16x32_fp8_fp8 v[156:159], a[82:83], a[26:27], v[156:159]// 00000000CAFC: D3F3009C 1E723552
	v_mfma_f32_16x16x32_fp8_fp8 v[156:159], a[84:85], a[28:29], v[156:159]// 00000000CB04: D3F3009C 1E723954
	v_mfma_f32_16x16x32_fp8_fp8 v[156:159], a[86:87], a[30:31], v[156:159]// 00000000CB0C: D3F3009C 1E723D56
	v_mfma_f32_16x16x32_fp8_fp8 v[176:179], a[88:89], a[24:25], v[176:179]// 00000000CB14: D3F300B0 1EC23158
	v_mfma_f32_16x16x32_fp8_fp8 v[176:179], a[90:91], a[26:27], v[176:179]// 00000000CB1C: D3F300B0 1EC2355A
	v_mfma_f32_16x16x32_fp8_fp8 v[176:179], a[92:93], a[28:29], v[176:179]// 00000000CB24: D3F300B0 1EC2395C
	v_mfma_f32_16x16x32_fp8_fp8 v[176:179], a[94:95], a[30:31], v[176:179]// 00000000CB2C: D3F300B0 1EC23D5E
	v_mfma_f32_16x16x32_fp8_fp8 v[196:199], a[96:97], a[24:25], v[196:199]// 00000000CB34: D3F300C4 1F123160
	v_mfma_f32_16x16x32_fp8_fp8 v[196:199], a[98:99], a[26:27], v[196:199]// 00000000CB3C: D3F300C4 1F123562
	v_mfma_f32_16x16x32_fp8_fp8 v[196:199], a[100:101], a[28:29], v[196:199]// 00000000CB44: D3F300C4 1F123964
	v_mfma_f32_16x16x32_fp8_fp8 v[196:199], a[102:103], a[30:31], v[196:199]// 00000000CB4C: D3F300C4 1F123D66
	v_mfma_f32_16x16x32_fp8_fp8 v[216:219], a[104:105], a[24:25], v[216:219]// 00000000CB54: D3F300D8 1F623168
	v_mfma_f32_16x16x32_fp8_fp8 v[216:219], a[106:107], a[26:27], v[216:219]// 00000000CB5C: D3F300D8 1F62356A
	v_mfma_f32_16x16x32_fp8_fp8 v[216:219], a[108:109], a[28:29], v[216:219]// 00000000CB64: D3F300D8 1F62396C
	v_mfma_f32_16x16x32_fp8_fp8 v[216:219], a[110:111], a[30:31], v[216:219]// 00000000CB6C: D3F300D8 1F623D6E
	v_mfma_f32_16x16x32_fp8_fp8 v[160:163], a[80:81], a[32:33], v[160:163]// 00000000CB74: D3F300A0 1E824150
	v_mfma_f32_16x16x32_fp8_fp8 v[160:163], a[82:83], a[34:35], v[160:163]// 00000000CB7C: D3F300A0 1E824552
	v_mfma_f32_16x16x32_fp8_fp8 v[160:163], a[84:85], a[36:37], v[160:163]// 00000000CB84: D3F300A0 1E824954
	v_mfma_f32_16x16x32_fp8_fp8 v[160:163], a[86:87], a[38:39], v[160:163]// 00000000CB8C: D3F300A0 1E824D56
	v_mfma_f32_16x16x32_fp8_fp8 v[180:183], a[88:89], a[32:33], v[180:183]// 00000000CB94: D3F300B4 1ED24158
	v_mfma_f32_16x16x32_fp8_fp8 v[180:183], a[90:91], a[34:35], v[180:183]// 00000000CB9C: D3F300B4 1ED2455A
	v_mfma_f32_16x16x32_fp8_fp8 v[180:183], a[92:93], a[36:37], v[180:183]// 00000000CBA4: D3F300B4 1ED2495C
	v_mfma_f32_16x16x32_fp8_fp8 v[180:183], a[94:95], a[38:39], v[180:183]// 00000000CBAC: D3F300B4 1ED24D5E
	v_mfma_f32_16x16x32_fp8_fp8 v[200:203], a[96:97], a[32:33], v[200:203]// 00000000CBB4: D3F300C8 1F224160
	s_add_u32 s60, 0x180, s80                                  // 00000000CBBC: 803C50FF 00000180
	s_cmp_lt_u32 s60, s81                                      // 00000000CBC4: BF0A513C
	s_cselect_b32 s57, s57, 0                                  // 00000000CBC8: 85398039
	v_mfma_f32_16x16x32_fp8_fp8 v[200:203], a[98:99], a[34:35], v[200:203]// 00000000CBCC: D3F300C8 1F224562
	s_add_u32 s60, 0x100, s80                                  // 00000000CBD4: 803C50FF 00000100
	s_cmp_lt_u32 s60, s81                                      // 00000000CBDC: BF0A513C
	s_cselect_b32 s58, s58, 0                                  // 00000000CBE0: 853A803A
	v_mfma_f32_16x16x32_fp8_fp8 v[200:203], a[100:101], a[36:37], v[200:203]// 00000000CBE4: D3F300C8 1F224964
	s_add_u32 s60, 0x100, s80                                  // 00000000CBEC: 803C50FF 00000100
	s_cmp_lt_u32 s60, s81                                      // 00000000CBF4: BF0A513C
	s_cselect_b32 s83, s83, 0                                  // 00000000CBF8: 85538053
	v_mfma_f32_16x16x32_fp8_fp8 v[200:203], a[102:103], a[38:39], v[200:203]// 00000000CBFC: D3F300C8 1F224D66
	s_add_u32 s24, s58, s24                                    // 00000000CC04: 8018183A
	s_addc_u32 s25, 0, s25                                     // 00000000CC08: 82191980
	v_mfma_f32_16x16x32_fp8_fp8 v[220:223], a[104:105], a[32:33], v[220:223]// 00000000CC0C: D3F300DC 1F724168
	s_add_u32 s20, s57, s20                                    // 00000000CC14: 80141439
	s_addc_u32 s21, 0, s21                                     // 00000000CC18: 82151580
	v_mfma_f32_16x16x32_fp8_fp8 v[220:223], a[106:107], a[34:35], v[220:223]// 00000000CC1C: D3F300DC 1F72456A
	s_add_u32 s84, s83, s84                                    // 00000000CC24: 80545453
	s_addc_u32 s85, 0, s85                                     // 00000000CC28: 82555580
	v_mfma_f32_16x16x32_fp8_fp8 v[220:223], a[108:109], a[36:37], v[220:223]// 00000000CC2C: D3F300DC 1F72496C
	v_mfma_f32_16x16x32_fp8_fp8 v[220:223], a[110:111], a[38:39], v[220:223]// 00000000CC34: D3F300DC 1F724D6E
	s_addk_i32 s80, 0x80                                       // 00000000CC3C: B7500080
	s_cmp_lt_i32 s80, s81                                      // 00000000CC40: BF045150
	s_cbranch_scc0 label_2A49                                  // 00000000CC44: BF8401B4
	s_waitcnt vmcnt(18) lgkmcnt(0)                             // 00000000CC48: BF8C4072
	v_mfma_f32_16x16x32_fp8_fp8 v[64:67], a[112:113], a[40:41], v[64:67]// 00000000CC4C: D3F30040 1D025170
	buffer_load_dwordx4 a[80:83], v60, s[24:27], 0 offen       // 00000000CC54: E05C1000 8086503C
	v_mfma_f32_16x16x32_fp8_fp8 v[64:67], a[114:115], a[42:43], v[64:67]// 00000000CC5C: D3F30040 1D025572
	v_mfma_f32_16x16x32_fp8_fp8 v[64:67], a[116:117], a[44:45], v[64:67]// 00000000CC64: D3F30040 1D025974
	v_mfma_f32_16x16x32_fp8_fp8 v[64:67], a[118:119], a[46:47], v[64:67]// 00000000CC6C: D3F30040 1D025D76
	v_mfma_f32_16x16x32_fp8_fp8 v[84:87], a[120:121], a[40:41], v[84:87]// 00000000CC74: D3F30054 1D525178
	buffer_load_dwordx4 a[84:87], v60, s[24:27], 0 offen offset:1024// 00000000CC7C: E05C1400 8086543C
	v_mfma_f32_16x16x32_fp8_fp8 v[84:87], a[122:123], a[42:43], v[84:87]// 00000000CC84: D3F30054 1D52557A
	v_mfma_f32_16x16x32_fp8_fp8 v[84:87], a[124:125], a[44:45], v[84:87]// 00000000CC8C: D3F30054 1D52597C
	v_mfma_f32_16x16x32_fp8_fp8 v[84:87], a[126:127], a[46:47], v[84:87]// 00000000CC94: D3F30054 1D525D7E
	v_mfma_f32_16x16x32_fp8_fp8 v[104:107], a[128:129], a[40:41], v[104:107]// 00000000CC9C: D3F30068 1DA25180
	buffer_load_dwordx4 a[88:91], v61, s[24:27], 0 offen       // 00000000CCA4: E05C1000 8086583D
	v_mfma_f32_16x16x32_fp8_fp8 v[104:107], a[130:131], a[42:43], v[104:107]// 00000000CCAC: D3F30068 1DA25582
	v_mfma_f32_16x16x32_fp8_fp8 v[104:107], a[132:133], a[44:45], v[104:107]// 00000000CCB4: D3F30068 1DA25984
	v_mfma_f32_16x16x32_fp8_fp8 v[104:107], a[134:135], a[46:47], v[104:107]// 00000000CCBC: D3F30068 1DA25D86
	v_mfma_f32_16x16x32_fp8_fp8 v[124:127], a[136:137], a[40:41], v[124:127]// 00000000CCC4: D3F3007C 1DF25188
	buffer_load_dwordx4 a[92:95], v61, s[24:27], 0 offen offset:1024// 00000000CCCC: E05C1400 80865C3D
	v_mfma_f32_16x16x32_fp8_fp8 v[124:127], a[138:139], a[42:43], v[124:127]// 00000000CCD4: D3F3007C 1DF2558A
	v_mfma_f32_16x16x32_fp8_fp8 v[124:127], a[140:141], a[44:45], v[124:127]// 00000000CCDC: D3F3007C 1DF2598C
	v_mfma_f32_16x16x32_fp8_fp8 v[124:127], a[142:143], a[46:47], v[124:127]// 00000000CCE4: D3F3007C 1DF25D8E
	v_mfma_f32_16x16x32_fp8_fp8 v[68:71], a[112:113], a[48:49], v[68:71]// 00000000CCEC: D3F30044 1D126170
	buffer_load_dwordx4 a[96:99], v62, s[24:27], 0 offen       // 00000000CCF4: E05C1000 8086603E
	v_mfma_f32_16x16x32_fp8_fp8 v[68:71], a[114:115], a[50:51], v[68:71]// 00000000CCFC: D3F30044 1D126572
	v_mfma_f32_16x16x32_fp8_fp8 v[68:71], a[116:117], a[52:53], v[68:71]// 00000000CD04: D3F30044 1D126974
	v_mfma_f32_16x16x32_fp8_fp8 v[68:71], a[118:119], a[54:55], v[68:71]// 00000000CD0C: D3F30044 1D126D76
	v_mfma_f32_16x16x32_fp8_fp8 v[88:91], a[120:121], a[48:49], v[88:91]// 00000000CD14: D3F30058 1D626178
	buffer_load_dwordx4 a[100:103], v62, s[24:27], 0 offen offset:1024// 00000000CD1C: E05C1400 8086643E
	v_mfma_f32_16x16x32_fp8_fp8 v[88:91], a[122:123], a[50:51], v[88:91]// 00000000CD24: D3F30058 1D62657A
	v_mfma_f32_16x16x32_fp8_fp8 v[88:91], a[124:125], a[52:53], v[88:91]// 00000000CD2C: D3F30058 1D62697C
	v_mfma_f32_16x16x32_fp8_fp8 v[88:91], a[126:127], a[54:55], v[88:91]// 00000000CD34: D3F30058 1D626D7E
	v_mfma_f32_16x16x32_fp8_fp8 v[108:111], a[128:129], a[48:49], v[108:111]// 00000000CD3C: D3F3006C 1DB26180
	buffer_load_dwordx4 a[104:107], v63, s[24:27], 0 offen     // 00000000CD44: E05C1000 8086683F
	v_mfma_f32_16x16x32_fp8_fp8 v[108:111], a[130:131], a[50:51], v[108:111]// 00000000CD4C: D3F3006C 1DB26582
	v_mfma_f32_16x16x32_fp8_fp8 v[108:111], a[132:133], a[52:53], v[108:111]// 00000000CD54: D3F3006C 1DB26984
	v_mfma_f32_16x16x32_fp8_fp8 v[108:111], a[134:135], a[54:55], v[108:111]// 00000000CD5C: D3F3006C 1DB26D86
	v_mfma_f32_16x16x32_fp8_fp8 v[128:131], a[136:137], a[48:49], v[128:131]// 00000000CD64: D3F30080 1E026188
	buffer_load_dwordx4 a[108:111], v63, s[24:27], 0 offen offset:1024// 00000000CD6C: E05C1400 80866C3F
	buffer_load_dword v50, s[20:23], 0 offen lds               // 00000000CD74: E0511000 80050032
	s_add_u32 m0, 0x100, s49                                   // 00000000CD7C: 807C31FF 00000100
	v_mfma_f32_16x16x32_fp8_fp8 v[128:131], a[138:139], a[50:51], v[128:131]// 00000000CD84: D3F30080 1E02658A
	v_mfma_f32_16x16x32_fp8_fp8 v[128:131], a[140:141], a[52:53], v[128:131]// 00000000CD8C: D3F30080 1E02698C
	buffer_load_dword v51, s[20:23], 0 offen lds               // 00000000CD94: E0511000 80050033
	s_add_u32 m0, 0x200, s49                                   // 00000000CD9C: 807C31FF 00000200
	v_mfma_f32_16x16x32_fp8_fp8 v[128:131], a[142:143], a[54:55], v[128:131]// 00000000CDA4: D3F30080 1E026D8E
	v_mfma_f32_16x16x32_fp8_fp8 v[72:75], a[112:113], a[56:57], v[72:75]// 00000000CDAC: D3F30048 1D227170
	buffer_load_dword v52, s[20:23], 0 offen lds               // 00000000CDB4: E0511000 80050034
	s_add_u32 m0, 0x300, s49                                   // 00000000CDBC: 807C31FF 00000300
	v_mfma_f32_16x16x32_fp8_fp8 v[72:75], a[114:115], a[58:59], v[72:75]// 00000000CDC4: D3F30048 1D227572
	v_mfma_f32_16x16x32_fp8_fp8 v[72:75], a[116:117], a[60:61], v[72:75]// 00000000CDCC: D3F30048 1D227974
	buffer_load_dword v53, s[20:23], 0 offen lds               // 00000000CDD4: E0511000 80050035
	s_add_u32 m0, 0x400, s49                                   // 00000000CDDC: 807C31FF 00000400
	v_mfma_f32_16x16x32_fp8_fp8 v[72:75], a[118:119], a[62:63], v[72:75]// 00000000CDE4: D3F30048 1D227D76
	v_mfma_f32_16x16x32_fp8_fp8 v[92:95], a[120:121], a[56:57], v[92:95]// 00000000CDEC: D3F3005C 1D727178
	buffer_load_dword v54, s[20:23], 0 offen lds               // 00000000CDF4: E0511000 80050036
	s_add_u32 m0, 0x500, s49                                   // 00000000CDFC: 807C31FF 00000500
	v_mfma_f32_16x16x32_fp8_fp8 v[92:95], a[122:123], a[58:59], v[92:95]// 00000000CE04: D3F3005C 1D72757A
	v_mfma_f32_16x16x32_fp8_fp8 v[92:95], a[124:125], a[60:61], v[92:95]// 00000000CE0C: D3F3005C 1D72797C
	buffer_load_dword v55, s[20:23], 0 offen lds               // 00000000CE14: E0511000 80050037
	s_add_u32 m0, 0x600, s49                                   // 00000000CE1C: 807C31FF 00000600
	v_mfma_f32_16x16x32_fp8_fp8 v[92:95], a[126:127], a[62:63], v[92:95]// 00000000CE24: D3F3005C 1D727D7E
	v_mfma_f32_16x16x32_fp8_fp8 v[112:115], a[128:129], a[56:57], v[112:115]// 00000000CE2C: D3F30070 1DC27180
	buffer_load_dword v56, s[20:23], 0 offen lds               // 00000000CE34: E0511000 80050038
	s_add_u32 m0, 0x700, s49                                   // 00000000CE3C: 807C31FF 00000700
	v_mfma_f32_16x16x32_fp8_fp8 v[112:115], a[130:131], a[58:59], v[112:115]// 00000000CE44: D3F30070 1DC27582
	v_mfma_f32_16x16x32_fp8_fp8 v[112:115], a[132:133], a[60:61], v[112:115]// 00000000CE4C: D3F30070 1DC27984
	buffer_load_dword v57, s[20:23], 0 offen lds               // 00000000CE54: E0511000 80050039
	s_add_u32 m0, 0x800, s49                                   // 00000000CE5C: 807C31FF 00000800
	v_mfma_f32_16x16x32_fp8_fp8 v[112:115], a[134:135], a[62:63], v[112:115]// 00000000CE64: D3F30070 1DC27D86
	v_mfma_f32_16x16x32_fp8_fp8 v[132:135], a[136:137], a[56:57], v[132:135]// 00000000CE6C: D3F30084 1E127188
	buffer_load_dword v58, s[20:23], 0 offen lds               // 00000000CE74: E0511000 8005003A
	s_add_u32 m0, 0x900, s49                                   // 00000000CE7C: 807C31FF 00000900
	v_mfma_f32_16x16x32_fp8_fp8 v[132:135], a[138:139], a[58:59], v[132:135]// 00000000CE84: D3F30084 1E12758A
	v_mfma_f32_16x16x32_fp8_fp8 v[132:135], a[140:141], a[60:61], v[132:135]// 00000000CE8C: D3F30084 1E12798C
	buffer_load_dword v59, s[20:23], 0 offen lds               // 00000000CE94: E0511000 8005003B
	s_add_u32 m0, 0, s50                                       // 00000000CE9C: 807C3280
	v_mfma_f32_16x16x32_fp8_fp8 v[132:135], a[142:143], a[62:63], v[132:135]// 00000000CEA0: D3F30084 1E127D8E
	v_mfma_f32_16x16x32_fp8_fp8 v[76:79], a[112:113], a[64:65], v[76:79]// 00000000CEA8: D3F3004C 1D328170
	v_mfma_f32_16x16x32_fp8_fp8 v[76:79], a[114:115], a[66:67], v[76:79]// 00000000CEB0: D3F3004C 1D328572
	v_mfma_f32_16x16x32_fp8_fp8 v[76:79], a[116:117], a[68:69], v[76:79]// 00000000CEB8: D3F3004C 1D328974
	v_mfma_f32_16x16x32_fp8_fp8 v[76:79], a[118:119], a[70:71], v[76:79]// 00000000CEC0: D3F3004C 1D328D76
	v_mfma_f32_16x16x32_fp8_fp8 v[96:99], a[120:121], a[64:65], v[96:99]// 00000000CEC8: D3F30060 1D828178
	v_mfma_f32_16x16x32_fp8_fp8 v[96:99], a[122:123], a[66:67], v[96:99]// 00000000CED0: D3F30060 1D82857A
	v_mfma_f32_16x16x32_fp8_fp8 v[96:99], a[124:125], a[68:69], v[96:99]// 00000000CED8: D3F30060 1D82897C
	v_mfma_f32_16x16x32_fp8_fp8 v[96:99], a[126:127], a[70:71], v[96:99]// 00000000CEE0: D3F30060 1D828D7E
	v_mfma_f32_16x16x32_fp8_fp8 v[116:119], a[128:129], a[64:65], v[116:119]// 00000000CEE8: D3F30074 1DD28180
	v_mfma_f32_16x16x32_fp8_fp8 v[116:119], a[130:131], a[66:67], v[116:119]// 00000000CEF0: D3F30074 1DD28582
	v_mfma_f32_16x16x32_fp8_fp8 v[116:119], a[132:133], a[68:69], v[116:119]// 00000000CEF8: D3F30074 1DD28984
	v_mfma_f32_16x16x32_fp8_fp8 v[116:119], a[134:135], a[70:71], v[116:119]// 00000000CF00: D3F30074 1DD28D86
	v_mfma_f32_16x16x32_fp8_fp8 v[136:139], a[136:137], a[64:65], v[136:139]// 00000000CF08: D3F30088 1E228188
	v_mfma_f32_16x16x32_fp8_fp8 v[136:139], a[138:139], a[66:67], v[136:139]// 00000000CF10: D3F30088 1E22858A
	v_mfma_f32_16x16x32_fp8_fp8 v[136:139], a[140:141], a[68:69], v[136:139]// 00000000CF18: D3F30088 1E22898C
	v_mfma_f32_16x16x32_fp8_fp8 v[136:139], a[142:143], a[70:71], v[136:139]// 00000000CF20: D3F30088 1E228D8E
	v_mfma_f32_16x16x32_fp8_fp8 v[80:83], a[112:113], a[72:73], v[80:83]// 00000000CF28: D3F30050 1D429170
	v_mfma_f32_16x16x32_fp8_fp8 v[80:83], a[114:115], a[74:75], v[80:83]// 00000000CF30: D3F30050 1D429572
	v_mfma_f32_16x16x32_fp8_fp8 v[80:83], a[116:117], a[76:77], v[80:83]// 00000000CF38: D3F30050 1D429974
	v_mfma_f32_16x16x32_fp8_fp8 v[80:83], a[118:119], a[78:79], v[80:83]// 00000000CF40: D3F30050 1D429D76
	v_mfma_f32_16x16x32_fp8_fp8 v[100:103], a[120:121], a[72:73], v[100:103]// 00000000CF48: D3F30064 1D929178
	v_mfma_f32_16x16x32_fp8_fp8 v[100:103], a[122:123], a[74:75], v[100:103]// 00000000CF50: D3F30064 1D92957A
	v_mfma_f32_16x16x32_fp8_fp8 v[100:103], a[124:125], a[76:77], v[100:103]// 00000000CF58: D3F30064 1D92997C
	v_mfma_f32_16x16x32_fp8_fp8 v[100:103], a[126:127], a[78:79], v[100:103]// 00000000CF60: D3F30064 1D929D7E
	v_mfma_f32_16x16x32_fp8_fp8 v[120:123], a[128:129], a[72:73], v[120:123]// 00000000CF68: D3F30078 1DE29180
	v_mfma_f32_16x16x32_fp8_fp8 v[120:123], a[130:131], a[74:75], v[120:123]// 00000000CF70: D3F30078 1DE29582
	v_mfma_f32_16x16x32_fp8_fp8 v[120:123], a[132:133], a[76:77], v[120:123]// 00000000CF78: D3F30078 1DE29984
	v_mfma_f32_16x16x32_fp8_fp8 v[120:123], a[134:135], a[78:79], v[120:123]// 00000000CF80: D3F30078 1DE29D86
	v_mfma_f32_16x16x32_fp8_fp8 v[140:143], a[136:137], a[72:73], v[140:143]// 00000000CF88: D3F3008C 1E329188
	v_mfma_f32_16x16x32_fp8_fp8 v[140:143], a[138:139], a[74:75], v[140:143]// 00000000CF90: D3F3008C 1E32958A
	v_mfma_f32_16x16x32_fp8_fp8 v[140:143], a[140:141], a[76:77], v[140:143]// 00000000CF98: D3F3008C 1E32998C
	v_mfma_f32_16x16x32_fp8_fp8 v[140:143], a[142:143], a[78:79], v[140:143]// 00000000CFA0: D3F3008C 1E329D8E
	s_waitcnt vmcnt(18)                                        // 00000000CFA8: BF8C4F72
	s_barrier                                                  // 00000000CFAC: BF8A0000
	v_mfma_f32_16x16x32_fp8_fp8 v[144:147], a[144:145], a[40:41], v[144:147]// 00000000CFB0: D3F30090 1E425190
	buffer_load_dwordx4 a[112:115], v60, s[84:87], 0 offen     // 00000000CFB8: E05C1000 8095703C
	v_mfma_f32_16x16x32_fp8_fp8 v[144:147], a[146:147], a[42:43], v[144:147]// 00000000CFC0: D3F30090 1E425592
	v_mfma_f32_16x16x32_fp8_fp8 v[144:147], a[148:149], a[44:45], v[144:147]// 00000000CFC8: D3F30090 1E425994
	ds_read_b128 a[0:3], v2                                    // 00000000CFD0: DBFE0000 00000002
	ds_read_b128 a[4:7], v2 offset:64                          // 00000000CFD8: DBFE0040 04000002
	v_mfma_f32_16x16x32_fp8_fp8 v[144:147], a[150:151], a[46:47], v[144:147]// 00000000CFE0: D3F30090 1E425D96
	v_mfma_f32_16x16x32_fp8_fp8 v[164:167], a[152:153], a[40:41], v[164:167]// 00000000CFE8: D3F300A4 1E925198
	buffer_load_dwordx4 a[116:119], v60, s[84:87], 0 offen offset:1024// 00000000CFF0: E05C1400 8095743C
	v_mfma_f32_16x16x32_fp8_fp8 v[164:167], a[154:155], a[42:43], v[164:167]// 00000000CFF8: D3F300A4 1E92559A
	v_mfma_f32_16x16x32_fp8_fp8 v[164:167], a[156:157], a[44:45], v[164:167]// 00000000D000: D3F300A4 1E92599C
	ds_read_b128 a[8:11], v2 offset:512                        // 00000000D008: DBFE0200 08000002
	ds_read_b128 a[12:15], v2 offset:576                       // 00000000D010: DBFE0240 0C000002
	v_mfma_f32_16x16x32_fp8_fp8 v[164:167], a[158:159], a[46:47], v[164:167]// 00000000D018: D3F300A4 1E925D9E
	v_mfma_f32_16x16x32_fp8_fp8 v[184:187], a[160:161], a[40:41], v[184:187]// 00000000D020: D3F300B8 1EE251A0
	buffer_load_dwordx4 a[120:123], v61, s[84:87], 0 offen     // 00000000D028: E05C1000 8095783D
	v_mfma_f32_16x16x32_fp8_fp8 v[184:187], a[162:163], a[42:43], v[184:187]// 00000000D030: D3F300B8 1EE255A2
	v_mfma_f32_16x16x32_fp8_fp8 v[184:187], a[164:165], a[44:45], v[184:187]// 00000000D038: D3F300B8 1EE259A4
	ds_read_b128 a[16:19], v2 offset:1024                      // 00000000D040: DBFE0400 10000002
	ds_read_b128 a[20:23], v2 offset:1088                      // 00000000D048: DBFE0440 14000002
	v_mfma_f32_16x16x32_fp8_fp8 v[184:187], a[166:167], a[46:47], v[184:187]// 00000000D050: D3F300B8 1EE25DA6
	v_mfma_f32_16x16x32_fp8_fp8 v[204:207], a[168:169], a[40:41], v[204:207]// 00000000D058: D3F300CC 1F3251A8
	buffer_load_dwordx4 a[124:127], v61, s[84:87], 0 offen offset:1024// 00000000D060: E05C1400 80957C3D
	v_mfma_f32_16x16x32_fp8_fp8 v[204:207], a[170:171], a[42:43], v[204:207]// 00000000D068: D3F300CC 1F3255AA
	v_mfma_f32_16x16x32_fp8_fp8 v[204:207], a[172:173], a[44:45], v[204:207]// 00000000D070: D3F300CC 1F3259AC
	ds_read_b128 a[24:27], v2 offset:1536                      // 00000000D078: DBFE0600 18000002
	ds_read_b128 a[28:31], v2 offset:1600                      // 00000000D080: DBFE0640 1C000002
	v_mfma_f32_16x16x32_fp8_fp8 v[204:207], a[174:175], a[46:47], v[204:207]// 00000000D088: D3F300CC 1F325DAE
	v_mfma_f32_16x16x32_fp8_fp8 v[148:151], a[144:145], a[48:49], v[148:151]// 00000000D090: D3F30094 1E526190
	buffer_load_dwordx4 a[128:131], v62, s[84:87], 0 offen     // 00000000D098: E05C1000 8095803E
	v_mfma_f32_16x16x32_fp8_fp8 v[148:151], a[146:147], a[50:51], v[148:151]// 00000000D0A0: D3F30094 1E526592
	v_mfma_f32_16x16x32_fp8_fp8 v[148:151], a[148:149], a[52:53], v[148:151]// 00000000D0A8: D3F30094 1E526994
	ds_read_b128 a[32:35], v2 offset:2048                      // 00000000D0B0: DBFE0800 20000002
	ds_read_b128 a[36:39], v2 offset:2112                      // 00000000D0B8: DBFE0840 24000002
	v_mfma_f32_16x16x32_fp8_fp8 v[148:151], a[150:151], a[54:55], v[148:151]// 00000000D0C0: D3F30094 1E526D96
	v_mfma_f32_16x16x32_fp8_fp8 v[168:171], a[152:153], a[48:49], v[168:171]// 00000000D0C8: D3F300A8 1EA26198
	buffer_load_dwordx4 a[132:135], v62, s[84:87], 0 offen offset:1024// 00000000D0D0: E05C1400 8095843E
	v_mfma_f32_16x16x32_fp8_fp8 v[168:171], a[154:155], a[50:51], v[168:171]// 00000000D0D8: D3F300A8 1EA2659A
	v_mfma_f32_16x16x32_fp8_fp8 v[168:171], a[156:157], a[52:53], v[168:171]// 00000000D0E0: D3F300A8 1EA2699C
	v_mfma_f32_16x16x32_fp8_fp8 v[168:171], a[158:159], a[54:55], v[168:171]// 00000000D0E8: D3F300A8 1EA26D9E
	v_mfma_f32_16x16x32_fp8_fp8 v[188:191], a[160:161], a[48:49], v[188:191]// 00000000D0F0: D3F300BC 1EF261A0
	buffer_load_dwordx4 a[136:139], v63, s[84:87], 0 offen     // 00000000D0F8: E05C1000 8095883F
	v_mfma_f32_16x16x32_fp8_fp8 v[188:191], a[162:163], a[50:51], v[188:191]// 00000000D100: D3F300BC 1EF265A2
	v_mfma_f32_16x16x32_fp8_fp8 v[188:191], a[164:165], a[52:53], v[188:191]// 00000000D108: D3F300BC 1EF269A4
	v_mfma_f32_16x16x32_fp8_fp8 v[188:191], a[166:167], a[54:55], v[188:191]// 00000000D110: D3F300BC 1EF26DA6
	v_mfma_f32_16x16x32_fp8_fp8 v[208:211], a[168:169], a[48:49], v[208:211]// 00000000D118: D3F300D0 1F4261A8
	buffer_load_dwordx4 a[140:143], v63, s[84:87], 0 offen offset:1024// 00000000D120: E05C1400 80958C3F
	v_mfma_f32_16x16x32_fp8_fp8 v[208:211], a[170:171], a[50:51], v[208:211]// 00000000D128: D3F300D0 1F4265AA
	v_mfma_f32_16x16x32_fp8_fp8 v[208:211], a[172:173], a[52:53], v[208:211]// 00000000D130: D3F300D0 1F4269AC
	v_mfma_f32_16x16x32_fp8_fp8 v[208:211], a[174:175], a[54:55], v[208:211]// 00000000D138: D3F300D0 1F426DAE
	v_mfma_f32_16x16x32_fp8_fp8 v[152:155], a[144:145], a[56:57], v[152:155]// 00000000D140: D3F30098 1E627190
	v_mfma_f32_16x16x32_fp8_fp8 v[152:155], a[146:147], a[58:59], v[152:155]// 00000000D148: D3F30098 1E627592
	v_mfma_f32_16x16x32_fp8_fp8 v[152:155], a[148:149], a[60:61], v[152:155]// 00000000D150: D3F30098 1E627994
	v_mfma_f32_16x16x32_fp8_fp8 v[152:155], a[150:151], a[62:63], v[152:155]// 00000000D158: D3F30098 1E627D96
	v_mfma_f32_16x16x32_fp8_fp8 v[172:175], a[152:153], a[56:57], v[172:175]// 00000000D160: D3F300AC 1EB27198
	v_mfma_f32_16x16x32_fp8_fp8 v[172:175], a[154:155], a[58:59], v[172:175]// 00000000D168: D3F300AC 1EB2759A
	v_mfma_f32_16x16x32_fp8_fp8 v[172:175], a[156:157], a[60:61], v[172:175]// 00000000D170: D3F300AC 1EB2799C
	v_mfma_f32_16x16x32_fp8_fp8 v[172:175], a[158:159], a[62:63], v[172:175]// 00000000D178: D3F300AC 1EB27D9E
	v_mfma_f32_16x16x32_fp8_fp8 v[192:195], a[160:161], a[56:57], v[192:195]// 00000000D180: D3F300C0 1F0271A0
	v_mfma_f32_16x16x32_fp8_fp8 v[192:195], a[162:163], a[58:59], v[192:195]// 00000000D188: D3F300C0 1F0275A2
	v_mfma_f32_16x16x32_fp8_fp8 v[192:195], a[164:165], a[60:61], v[192:195]// 00000000D190: D3F300C0 1F0279A4
	v_mfma_f32_16x16x32_fp8_fp8 v[192:195], a[166:167], a[62:63], v[192:195]// 00000000D198: D3F300C0 1F027DA6
	v_mfma_f32_16x16x32_fp8_fp8 v[212:215], a[168:169], a[56:57], v[212:215]// 00000000D1A0: D3F300D4 1F5271A8
	v_mfma_f32_16x16x32_fp8_fp8 v[212:215], a[170:171], a[58:59], v[212:215]// 00000000D1A8: D3F300D4 1F5275AA
	v_mfma_f32_16x16x32_fp8_fp8 v[212:215], a[172:173], a[60:61], v[212:215]// 00000000D1B0: D3F300D4 1F5279AC
	v_mfma_f32_16x16x32_fp8_fp8 v[212:215], a[174:175], a[62:63], v[212:215]// 00000000D1B8: D3F300D4 1F527DAE
	v_mfma_f32_16x16x32_fp8_fp8 v[156:159], a[144:145], a[64:65], v[156:159]// 00000000D1C0: D3F3009C 1E728190
	v_mfma_f32_16x16x32_fp8_fp8 v[156:159], a[146:147], a[66:67], v[156:159]// 00000000D1C8: D3F3009C 1E728592
	v_mfma_f32_16x16x32_fp8_fp8 v[156:159], a[148:149], a[68:69], v[156:159]// 00000000D1D0: D3F3009C 1E728994
	v_mfma_f32_16x16x32_fp8_fp8 v[156:159], a[150:151], a[70:71], v[156:159]// 00000000D1D8: D3F3009C 1E728D96
	v_mfma_f32_16x16x32_fp8_fp8 v[176:179], a[152:153], a[64:65], v[176:179]// 00000000D1E0: D3F300B0 1EC28198
	v_mfma_f32_16x16x32_fp8_fp8 v[176:179], a[154:155], a[66:67], v[176:179]// 00000000D1E8: D3F300B0 1EC2859A
	v_mfma_f32_16x16x32_fp8_fp8 v[176:179], a[156:157], a[68:69], v[176:179]// 00000000D1F0: D3F300B0 1EC2899C
	v_mfma_f32_16x16x32_fp8_fp8 v[176:179], a[158:159], a[70:71], v[176:179]// 00000000D1F8: D3F300B0 1EC28D9E
	v_mfma_f32_16x16x32_fp8_fp8 v[196:199], a[160:161], a[64:65], v[196:199]// 00000000D200: D3F300C4 1F1281A0
	v_mfma_f32_16x16x32_fp8_fp8 v[196:199], a[162:163], a[66:67], v[196:199]// 00000000D208: D3F300C4 1F1285A2
	v_mfma_f32_16x16x32_fp8_fp8 v[196:199], a[164:165], a[68:69], v[196:199]// 00000000D210: D3F300C4 1F1289A4
	v_mfma_f32_16x16x32_fp8_fp8 v[196:199], a[166:167], a[70:71], v[196:199]// 00000000D218: D3F300C4 1F128DA6
	v_mfma_f32_16x16x32_fp8_fp8 v[216:219], a[168:169], a[64:65], v[216:219]// 00000000D220: D3F300D8 1F6281A8
	v_mfma_f32_16x16x32_fp8_fp8 v[216:219], a[170:171], a[66:67], v[216:219]// 00000000D228: D3F300D8 1F6285AA
	v_mfma_f32_16x16x32_fp8_fp8 v[216:219], a[172:173], a[68:69], v[216:219]// 00000000D230: D3F300D8 1F6289AC
	v_mfma_f32_16x16x32_fp8_fp8 v[216:219], a[174:175], a[70:71], v[216:219]// 00000000D238: D3F300D8 1F628DAE
	v_mfma_f32_16x16x32_fp8_fp8 v[160:163], a[144:145], a[72:73], v[160:163]// 00000000D240: D3F300A0 1E829190
	v_mfma_f32_16x16x32_fp8_fp8 v[160:163], a[146:147], a[74:75], v[160:163]// 00000000D248: D3F300A0 1E829592
	v_mfma_f32_16x16x32_fp8_fp8 v[160:163], a[148:149], a[76:77], v[160:163]// 00000000D250: D3F300A0 1E829994
	v_mfma_f32_16x16x32_fp8_fp8 v[160:163], a[150:151], a[78:79], v[160:163]// 00000000D258: D3F300A0 1E829D96
	v_mfma_f32_16x16x32_fp8_fp8 v[180:183], a[152:153], a[72:73], v[180:183]// 00000000D260: D3F300B4 1ED29198
	v_mfma_f32_16x16x32_fp8_fp8 v[180:183], a[154:155], a[74:75], v[180:183]// 00000000D268: D3F300B4 1ED2959A
	v_mfma_f32_16x16x32_fp8_fp8 v[180:183], a[156:157], a[76:77], v[180:183]// 00000000D270: D3F300B4 1ED2999C
	v_mfma_f32_16x16x32_fp8_fp8 v[180:183], a[158:159], a[78:79], v[180:183]// 00000000D278: D3F300B4 1ED29D9E
	v_mfma_f32_16x16x32_fp8_fp8 v[200:203], a[160:161], a[72:73], v[200:203]// 00000000D280: D3F300C8 1F2291A0
	s_add_u32 s60, 0x180, s80                                  // 00000000D288: 803C50FF 00000180
	s_cmp_lt_u32 s60, s81                                      // 00000000D290: BF0A513C
	s_cselect_b32 s57, s57, 0                                  // 00000000D294: 85398039
	v_mfma_f32_16x16x32_fp8_fp8 v[200:203], a[162:163], a[74:75], v[200:203]// 00000000D298: D3F300C8 1F2295A2
	s_add_u32 s60, 0x100, s80                                  // 00000000D2A0: 803C50FF 00000100
	s_cmp_lt_u32 s60, s81                                      // 00000000D2A8: BF0A513C
	s_cselect_b32 s58, s58, 0                                  // 00000000D2AC: 853A803A
	v_mfma_f32_16x16x32_fp8_fp8 v[200:203], a[164:165], a[76:77], v[200:203]// 00000000D2B0: D3F300C8 1F2299A4
	s_add_u32 s60, 0x100, s80                                  // 00000000D2B8: 803C50FF 00000100
	s_cmp_lt_u32 s60, s81                                      // 00000000D2C0: BF0A513C
	s_cselect_b32 s83, s83, 0                                  // 00000000D2C4: 85538053
	v_mfma_f32_16x16x32_fp8_fp8 v[200:203], a[166:167], a[78:79], v[200:203]// 00000000D2C8: D3F300C8 1F229DA6
	s_add_u32 s24, s58, s24                                    // 00000000D2D0: 8018183A
	s_addc_u32 s25, 0, s25                                     // 00000000D2D4: 82191980
	v_mfma_f32_16x16x32_fp8_fp8 v[220:223], a[168:169], a[72:73], v[220:223]// 00000000D2D8: D3F300DC 1F7291A8
	s_add_u32 s20, s57, s20                                    // 00000000D2E0: 80141439
	s_addc_u32 s21, 0, s21                                     // 00000000D2E4: 82151580
	v_mfma_f32_16x16x32_fp8_fp8 v[220:223], a[170:171], a[74:75], v[220:223]// 00000000D2E8: D3F300DC 1F7295AA
	s_add_u32 s84, s83, s84                                    // 00000000D2F0: 80545453
	s_addc_u32 s85, 0, s85                                     // 00000000D2F4: 82555580
	v_mfma_f32_16x16x32_fp8_fp8 v[220:223], a[172:173], a[76:77], v[220:223]// 00000000D2F8: D3F300DC 1F7299AC
	v_mfma_f32_16x16x32_fp8_fp8 v[220:223], a[174:175], a[78:79], v[220:223]// 00000000D300: D3F300DC 1F729DAE
	s_addk_i32 s80, 0x80                                       // 00000000D308: B7500080
	s_cmp_lt_i32 s80, s81                                      // 00000000D30C: BF045150
	s_cbranch_scc0 label_2A49                                  // 00000000D310: BF840001
	s_branch label_2016                                        // 00000000D314: BF82F5CD

000000000000d318 <label_2A49>:
	v_mul_f32_dpp v64, v24, v64 row_newbcast:0 row_mask:0xf bank_mask:0xf// 00000000D318: 0A8080FA FF015018
	v_mul_f32_dpp v65, v24, v65 row_newbcast:1 row_mask:0xf bank_mask:0xf// 00000000D320: 0A8282FA FF015118
	v_mul_f32_dpp v66, v24, v66 row_newbcast:2 row_mask:0xf bank_mask:0xf// 00000000D328: 0A8484FA FF015218
	v_mul_f32_dpp v67, v24, v67 row_newbcast:3 row_mask:0xf bank_mask:0xf// 00000000D330: 0A8686FA FF015318
	v_mul_f32_dpp v68, v24, v68 row_newbcast:0 row_mask:0xf bank_mask:0xf// 00000000D338: 0A8888FA FF015018
	v_mul_f32_dpp v69, v24, v69 row_newbcast:1 row_mask:0xf bank_mask:0xf// 00000000D340: 0A8A8AFA FF015118
	v_mul_f32_dpp v70, v24, v70 row_newbcast:2 row_mask:0xf bank_mask:0xf// 00000000D348: 0A8C8CFA FF015218
	v_mul_f32_dpp v71, v24, v71 row_newbcast:3 row_mask:0xf bank_mask:0xf// 00000000D350: 0A8E8EFA FF015318
	v_mul_f32_dpp v72, v24, v72 row_newbcast:0 row_mask:0xf bank_mask:0xf// 00000000D358: 0A9090FA FF015018
	v_mul_f32_dpp v73, v24, v73 row_newbcast:1 row_mask:0xf bank_mask:0xf// 00000000D360: 0A9292FA FF015118
	v_mul_f32_dpp v74, v24, v74 row_newbcast:2 row_mask:0xf bank_mask:0xf// 00000000D368: 0A9494FA FF015218
	v_mul_f32_dpp v75, v24, v75 row_newbcast:3 row_mask:0xf bank_mask:0xf// 00000000D370: 0A9696FA FF015318
	v_mul_f32_dpp v76, v24, v76 row_newbcast:0 row_mask:0xf bank_mask:0xf// 00000000D378: 0A9898FA FF015018
	v_mul_f32_dpp v77, v24, v77 row_newbcast:1 row_mask:0xf bank_mask:0xf// 00000000D380: 0A9A9AFA FF015118
	v_mul_f32_dpp v78, v24, v78 row_newbcast:2 row_mask:0xf bank_mask:0xf// 00000000D388: 0A9C9CFA FF015218
	v_mul_f32_dpp v79, v24, v79 row_newbcast:3 row_mask:0xf bank_mask:0xf// 00000000D390: 0A9E9EFA FF015318
	v_mul_f32_dpp v80, v24, v80 row_newbcast:0 row_mask:0xf bank_mask:0xf// 00000000D398: 0AA0A0FA FF015018
	v_mul_f32_dpp v81, v24, v81 row_newbcast:1 row_mask:0xf bank_mask:0xf// 00000000D3A0: 0AA2A2FA FF015118
	v_mul_f32_dpp v82, v24, v82 row_newbcast:2 row_mask:0xf bank_mask:0xf// 00000000D3A8: 0AA4A4FA FF015218
	v_mul_f32_dpp v83, v24, v83 row_newbcast:3 row_mask:0xf bank_mask:0xf// 00000000D3B0: 0AA6A6FA FF015318
	v_mul_f32_dpp v84, v24, v84 row_newbcast:4 row_mask:0xf bank_mask:0xf// 00000000D3B8: 0AA8A8FA FF015418
	v_mul_f32_dpp v85, v24, v85 row_newbcast:5 row_mask:0xf bank_mask:0xf// 00000000D3C0: 0AAAAAFA FF015518
	v_mul_f32_dpp v86, v24, v86 row_newbcast:6 row_mask:0xf bank_mask:0xf// 00000000D3C8: 0AACACFA FF015618
	v_mul_f32_dpp v87, v24, v87 row_newbcast:7 row_mask:0xf bank_mask:0xf// 00000000D3D0: 0AAEAEFA FF015718
	v_mul_f32_dpp v88, v24, v88 row_newbcast:4 row_mask:0xf bank_mask:0xf// 00000000D3D8: 0AB0B0FA FF015418
	v_mul_f32_dpp v89, v24, v89 row_newbcast:5 row_mask:0xf bank_mask:0xf// 00000000D3E0: 0AB2B2FA FF015518
	v_mul_f32_dpp v90, v24, v90 row_newbcast:6 row_mask:0xf bank_mask:0xf// 00000000D3E8: 0AB4B4FA FF015618
	v_mul_f32_dpp v91, v24, v91 row_newbcast:7 row_mask:0xf bank_mask:0xf// 00000000D3F0: 0AB6B6FA FF015718
	v_mul_f32_dpp v92, v24, v92 row_newbcast:4 row_mask:0xf bank_mask:0xf// 00000000D3F8: 0AB8B8FA FF015418
	v_mul_f32_dpp v93, v24, v93 row_newbcast:5 row_mask:0xf bank_mask:0xf// 00000000D400: 0ABABAFA FF015518
	v_mul_f32_dpp v94, v24, v94 row_newbcast:6 row_mask:0xf bank_mask:0xf// 00000000D408: 0ABCBCFA FF015618
	v_mul_f32_dpp v95, v24, v95 row_newbcast:7 row_mask:0xf bank_mask:0xf// 00000000D410: 0ABEBEFA FF015718
	v_mul_f32_dpp v96, v24, v96 row_newbcast:4 row_mask:0xf bank_mask:0xf// 00000000D418: 0AC0C0FA FF015418
	v_mul_f32_dpp v97, v24, v97 row_newbcast:5 row_mask:0xf bank_mask:0xf// 00000000D420: 0AC2C2FA FF015518
	v_mul_f32_dpp v98, v24, v98 row_newbcast:6 row_mask:0xf bank_mask:0xf// 00000000D428: 0AC4C4FA FF015618
	v_mul_f32_dpp v99, v24, v99 row_newbcast:7 row_mask:0xf bank_mask:0xf// 00000000D430: 0AC6C6FA FF015718
	v_mul_f32_dpp v100, v24, v100 row_newbcast:4 row_mask:0xf bank_mask:0xf// 00000000D438: 0AC8C8FA FF015418
	v_mul_f32_dpp v101, v24, v101 row_newbcast:5 row_mask:0xf bank_mask:0xf// 00000000D440: 0ACACAFA FF015518
	v_mul_f32_dpp v102, v24, v102 row_newbcast:6 row_mask:0xf bank_mask:0xf// 00000000D448: 0ACCCCFA FF015618
	v_mul_f32_dpp v103, v24, v103 row_newbcast:7 row_mask:0xf bank_mask:0xf// 00000000D450: 0ACECEFA FF015718
	v_mul_f32_dpp v104, v24, v104 row_newbcast:8 row_mask:0xf bank_mask:0xf// 00000000D458: 0AD0D0FA FF015818
	v_mul_f32_dpp v105, v24, v105 row_newbcast:9 row_mask:0xf bank_mask:0xf// 00000000D460: 0AD2D2FA FF015918
	v_mul_f32_dpp v106, v24, v106 row_newbcast:10 row_mask:0xf bank_mask:0xf// 00000000D468: 0AD4D4FA FF015A18
	v_mul_f32_dpp v107, v24, v107 row_newbcast:11 row_mask:0xf bank_mask:0xf// 00000000D470: 0AD6D6FA FF015B18
	v_mul_f32_dpp v108, v24, v108 row_newbcast:8 row_mask:0xf bank_mask:0xf// 00000000D478: 0AD8D8FA FF015818
	v_mul_f32_dpp v109, v24, v109 row_newbcast:9 row_mask:0xf bank_mask:0xf// 00000000D480: 0ADADAFA FF015918
	v_mul_f32_dpp v110, v24, v110 row_newbcast:10 row_mask:0xf bank_mask:0xf// 00000000D488: 0ADCDCFA FF015A18
	v_mul_f32_dpp v111, v24, v111 row_newbcast:11 row_mask:0xf bank_mask:0xf// 00000000D490: 0ADEDEFA FF015B18
	v_mul_f32_dpp v112, v24, v112 row_newbcast:8 row_mask:0xf bank_mask:0xf// 00000000D498: 0AE0E0FA FF015818
	v_mul_f32_dpp v113, v24, v113 row_newbcast:9 row_mask:0xf bank_mask:0xf// 00000000D4A0: 0AE2E2FA FF015918
	v_mul_f32_dpp v114, v24, v114 row_newbcast:10 row_mask:0xf bank_mask:0xf// 00000000D4A8: 0AE4E4FA FF015A18
	v_mul_f32_dpp v115, v24, v115 row_newbcast:11 row_mask:0xf bank_mask:0xf// 00000000D4B0: 0AE6E6FA FF015B18
	v_mul_f32_dpp v116, v24, v116 row_newbcast:8 row_mask:0xf bank_mask:0xf// 00000000D4B8: 0AE8E8FA FF015818
	v_mul_f32_dpp v117, v24, v117 row_newbcast:9 row_mask:0xf bank_mask:0xf// 00000000D4C0: 0AEAEAFA FF015918
	v_mul_f32_dpp v118, v24, v118 row_newbcast:10 row_mask:0xf bank_mask:0xf// 00000000D4C8: 0AECECFA FF015A18
	v_mul_f32_dpp v119, v24, v119 row_newbcast:11 row_mask:0xf bank_mask:0xf// 00000000D4D0: 0AEEEEFA FF015B18
	v_mul_f32_dpp v120, v24, v120 row_newbcast:8 row_mask:0xf bank_mask:0xf// 00000000D4D8: 0AF0F0FA FF015818
	v_mul_f32_dpp v121, v24, v121 row_newbcast:9 row_mask:0xf bank_mask:0xf// 00000000D4E0: 0AF2F2FA FF015918
	v_mul_f32_dpp v122, v24, v122 row_newbcast:10 row_mask:0xf bank_mask:0xf// 00000000D4E8: 0AF4F4FA FF015A18
	v_mul_f32_dpp v123, v24, v123 row_newbcast:11 row_mask:0xf bank_mask:0xf// 00000000D4F0: 0AF6F6FA FF015B18
	v_mul_f32_dpp v124, v24, v124 row_newbcast:12 row_mask:0xf bank_mask:0xf// 00000000D4F8: 0AF8F8FA FF015C18
	v_mul_f32_dpp v125, v24, v125 row_newbcast:13 row_mask:0xf bank_mask:0xf// 00000000D500: 0AFAFAFA FF015D18
	v_mul_f32_dpp v126, v24, v126 row_newbcast:14 row_mask:0xf bank_mask:0xf// 00000000D508: 0AFCFCFA FF015E18
	v_mul_f32_dpp v127, v24, v127 row_newbcast:15 row_mask:0xf bank_mask:0xf// 00000000D510: 0AFEFEFA FF015F18
	v_mul_f32_dpp v128, v24, v128 row_newbcast:12 row_mask:0xf bank_mask:0xf// 00000000D518: 0B0100FA FF015C18
	v_mul_f32_dpp v129, v24, v129 row_newbcast:13 row_mask:0xf bank_mask:0xf// 00000000D520: 0B0302FA FF015D18
	v_mul_f32_dpp v130, v24, v130 row_newbcast:14 row_mask:0xf bank_mask:0xf// 00000000D528: 0B0504FA FF015E18
	v_mul_f32_dpp v131, v24, v131 row_newbcast:15 row_mask:0xf bank_mask:0xf// 00000000D530: 0B0706FA FF015F18
	v_mul_f32_dpp v132, v24, v132 row_newbcast:12 row_mask:0xf bank_mask:0xf// 00000000D538: 0B0908FA FF015C18
	v_mul_f32_dpp v133, v24, v133 row_newbcast:13 row_mask:0xf bank_mask:0xf// 00000000D540: 0B0B0AFA FF015D18
	v_mul_f32_dpp v134, v24, v134 row_newbcast:14 row_mask:0xf bank_mask:0xf// 00000000D548: 0B0D0CFA FF015E18
	v_mul_f32_dpp v135, v24, v135 row_newbcast:15 row_mask:0xf bank_mask:0xf// 00000000D550: 0B0F0EFA FF015F18
	v_mul_f32_dpp v136, v24, v136 row_newbcast:12 row_mask:0xf bank_mask:0xf// 00000000D558: 0B1110FA FF015C18
	v_mul_f32_dpp v137, v24, v137 row_newbcast:13 row_mask:0xf bank_mask:0xf// 00000000D560: 0B1312FA FF015D18
	v_mul_f32_dpp v138, v24, v138 row_newbcast:14 row_mask:0xf bank_mask:0xf// 00000000D568: 0B1514FA FF015E18
	v_mul_f32_dpp v139, v24, v139 row_newbcast:15 row_mask:0xf bank_mask:0xf// 00000000D570: 0B1716FA FF015F18
	v_mul_f32_dpp v140, v24, v140 row_newbcast:12 row_mask:0xf bank_mask:0xf// 00000000D578: 0B1918FA FF015C18
	v_mul_f32_dpp v141, v24, v141 row_newbcast:13 row_mask:0xf bank_mask:0xf// 00000000D580: 0B1B1AFA FF015D18
	v_mul_f32_dpp v142, v24, v142 row_newbcast:14 row_mask:0xf bank_mask:0xf// 00000000D588: 0B1D1CFA FF015E18
	v_mul_f32_dpp v143, v24, v143 row_newbcast:15 row_mask:0xf bank_mask:0xf// 00000000D590: 0B1F1EFA FF015F18
	v_mul_f32_dpp v144, v27, v144 row_newbcast:0 row_mask:0xf bank_mask:0xf// 00000000D598: 0B2120FA FF01501B
	v_mul_f32_dpp v145, v27, v145 row_newbcast:1 row_mask:0xf bank_mask:0xf// 00000000D5A0: 0B2322FA FF01511B
	v_mul_f32_dpp v146, v27, v146 row_newbcast:2 row_mask:0xf bank_mask:0xf// 00000000D5A8: 0B2524FA FF01521B
	v_mul_f32_dpp v147, v27, v147 row_newbcast:3 row_mask:0xf bank_mask:0xf// 00000000D5B0: 0B2726FA FF01531B
	v_mul_f32_dpp v148, v27, v148 row_newbcast:0 row_mask:0xf bank_mask:0xf// 00000000D5B8: 0B2928FA FF01501B
	v_mul_f32_dpp v149, v27, v149 row_newbcast:1 row_mask:0xf bank_mask:0xf// 00000000D5C0: 0B2B2AFA FF01511B
	v_mul_f32_dpp v150, v27, v150 row_newbcast:2 row_mask:0xf bank_mask:0xf// 00000000D5C8: 0B2D2CFA FF01521B
	v_mul_f32_dpp v151, v27, v151 row_newbcast:3 row_mask:0xf bank_mask:0xf// 00000000D5D0: 0B2F2EFA FF01531B
	v_mul_f32_dpp v152, v27, v152 row_newbcast:0 row_mask:0xf bank_mask:0xf// 00000000D5D8: 0B3130FA FF01501B
	v_mul_f32_dpp v153, v27, v153 row_newbcast:1 row_mask:0xf bank_mask:0xf// 00000000D5E0: 0B3332FA FF01511B
	v_mul_f32_dpp v154, v27, v154 row_newbcast:2 row_mask:0xf bank_mask:0xf// 00000000D5E8: 0B3534FA FF01521B
	v_mul_f32_dpp v155, v27, v155 row_newbcast:3 row_mask:0xf bank_mask:0xf// 00000000D5F0: 0B3736FA FF01531B
	v_mul_f32_dpp v156, v27, v156 row_newbcast:0 row_mask:0xf bank_mask:0xf// 00000000D5F8: 0B3938FA FF01501B
	v_mul_f32_dpp v157, v27, v157 row_newbcast:1 row_mask:0xf bank_mask:0xf// 00000000D600: 0B3B3AFA FF01511B
	v_mul_f32_dpp v158, v27, v158 row_newbcast:2 row_mask:0xf bank_mask:0xf// 00000000D608: 0B3D3CFA FF01521B
	v_mul_f32_dpp v159, v27, v159 row_newbcast:3 row_mask:0xf bank_mask:0xf// 00000000D610: 0B3F3EFA FF01531B
	v_mul_f32_dpp v160, v27, v160 row_newbcast:0 row_mask:0xf bank_mask:0xf// 00000000D618: 0B4140FA FF01501B
	v_mul_f32_dpp v161, v27, v161 row_newbcast:1 row_mask:0xf bank_mask:0xf// 00000000D620: 0B4342FA FF01511B
	v_mul_f32_dpp v162, v27, v162 row_newbcast:2 row_mask:0xf bank_mask:0xf// 00000000D628: 0B4544FA FF01521B
	v_mul_f32_dpp v163, v27, v163 row_newbcast:3 row_mask:0xf bank_mask:0xf// 00000000D630: 0B4746FA FF01531B
	v_mul_f32_dpp v164, v27, v164 row_newbcast:4 row_mask:0xf bank_mask:0xf// 00000000D638: 0B4948FA FF01541B
	v_mul_f32_dpp v165, v27, v165 row_newbcast:5 row_mask:0xf bank_mask:0xf// 00000000D640: 0B4B4AFA FF01551B
	v_mul_f32_dpp v166, v27, v166 row_newbcast:6 row_mask:0xf bank_mask:0xf// 00000000D648: 0B4D4CFA FF01561B
	v_mul_f32_dpp v167, v27, v167 row_newbcast:7 row_mask:0xf bank_mask:0xf// 00000000D650: 0B4F4EFA FF01571B
	v_mul_f32_dpp v168, v27, v168 row_newbcast:4 row_mask:0xf bank_mask:0xf// 00000000D658: 0B5150FA FF01541B
	v_mul_f32_dpp v169, v27, v169 row_newbcast:5 row_mask:0xf bank_mask:0xf// 00000000D660: 0B5352FA FF01551B
	v_mul_f32_dpp v170, v27, v170 row_newbcast:6 row_mask:0xf bank_mask:0xf// 00000000D668: 0B5554FA FF01561B
	v_mul_f32_dpp v171, v27, v171 row_newbcast:7 row_mask:0xf bank_mask:0xf// 00000000D670: 0B5756FA FF01571B
	v_mul_f32_dpp v172, v27, v172 row_newbcast:4 row_mask:0xf bank_mask:0xf// 00000000D678: 0B5958FA FF01541B
	v_mul_f32_dpp v173, v27, v173 row_newbcast:5 row_mask:0xf bank_mask:0xf// 00000000D680: 0B5B5AFA FF01551B
	v_mul_f32_dpp v174, v27, v174 row_newbcast:6 row_mask:0xf bank_mask:0xf// 00000000D688: 0B5D5CFA FF01561B
	v_mul_f32_dpp v175, v27, v175 row_newbcast:7 row_mask:0xf bank_mask:0xf// 00000000D690: 0B5F5EFA FF01571B
	v_mul_f32_dpp v176, v27, v176 row_newbcast:4 row_mask:0xf bank_mask:0xf// 00000000D698: 0B6160FA FF01541B
	v_mul_f32_dpp v177, v27, v177 row_newbcast:5 row_mask:0xf bank_mask:0xf// 00000000D6A0: 0B6362FA FF01551B
	v_mul_f32_dpp v178, v27, v178 row_newbcast:6 row_mask:0xf bank_mask:0xf// 00000000D6A8: 0B6564FA FF01561B
	v_mul_f32_dpp v179, v27, v179 row_newbcast:7 row_mask:0xf bank_mask:0xf// 00000000D6B0: 0B6766FA FF01571B
	v_mul_f32_dpp v180, v27, v180 row_newbcast:4 row_mask:0xf bank_mask:0xf// 00000000D6B8: 0B6968FA FF01541B
	v_mul_f32_dpp v181, v27, v181 row_newbcast:5 row_mask:0xf bank_mask:0xf// 00000000D6C0: 0B6B6AFA FF01551B
	v_mul_f32_dpp v182, v27, v182 row_newbcast:6 row_mask:0xf bank_mask:0xf// 00000000D6C8: 0B6D6CFA FF01561B
	v_mul_f32_dpp v183, v27, v183 row_newbcast:7 row_mask:0xf bank_mask:0xf// 00000000D6D0: 0B6F6EFA FF01571B
	v_mul_f32_dpp v184, v27, v184 row_newbcast:8 row_mask:0xf bank_mask:0xf// 00000000D6D8: 0B7170FA FF01581B
	v_mul_f32_dpp v185, v27, v185 row_newbcast:9 row_mask:0xf bank_mask:0xf// 00000000D6E0: 0B7372FA FF01591B
	v_mul_f32_dpp v186, v27, v186 row_newbcast:10 row_mask:0xf bank_mask:0xf// 00000000D6E8: 0B7574FA FF015A1B
	v_mul_f32_dpp v187, v27, v187 row_newbcast:11 row_mask:0xf bank_mask:0xf// 00000000D6F0: 0B7776FA FF015B1B
	v_mul_f32_dpp v188, v27, v188 row_newbcast:8 row_mask:0xf bank_mask:0xf// 00000000D6F8: 0B7978FA FF01581B
	v_mul_f32_dpp v189, v27, v189 row_newbcast:9 row_mask:0xf bank_mask:0xf// 00000000D700: 0B7B7AFA FF01591B
	v_mul_f32_dpp v190, v27, v190 row_newbcast:10 row_mask:0xf bank_mask:0xf// 00000000D708: 0B7D7CFA FF015A1B
	v_mul_f32_dpp v191, v27, v191 row_newbcast:11 row_mask:0xf bank_mask:0xf// 00000000D710: 0B7F7EFA FF015B1B
	v_mul_f32_dpp v192, v27, v192 row_newbcast:8 row_mask:0xf bank_mask:0xf// 00000000D718: 0B8180FA FF01581B
	v_mul_f32_dpp v193, v27, v193 row_newbcast:9 row_mask:0xf bank_mask:0xf// 00000000D720: 0B8382FA FF01591B
	v_mul_f32_dpp v194, v27, v194 row_newbcast:10 row_mask:0xf bank_mask:0xf// 00000000D728: 0B8584FA FF015A1B
	v_mul_f32_dpp v195, v27, v195 row_newbcast:11 row_mask:0xf bank_mask:0xf// 00000000D730: 0B8786FA FF015B1B
	v_mul_f32_dpp v196, v27, v196 row_newbcast:8 row_mask:0xf bank_mask:0xf// 00000000D738: 0B8988FA FF01581B
	v_mul_f32_dpp v197, v27, v197 row_newbcast:9 row_mask:0xf bank_mask:0xf// 00000000D740: 0B8B8AFA FF01591B
	v_mul_f32_dpp v198, v27, v198 row_newbcast:10 row_mask:0xf bank_mask:0xf// 00000000D748: 0B8D8CFA FF015A1B
	v_mul_f32_dpp v199, v27, v199 row_newbcast:11 row_mask:0xf bank_mask:0xf// 00000000D750: 0B8F8EFA FF015B1B
	v_mul_f32_dpp v200, v27, v200 row_newbcast:8 row_mask:0xf bank_mask:0xf// 00000000D758: 0B9190FA FF01581B
	v_mul_f32_dpp v201, v27, v201 row_newbcast:9 row_mask:0xf bank_mask:0xf// 00000000D760: 0B9392FA FF01591B
	v_mul_f32_dpp v202, v27, v202 row_newbcast:10 row_mask:0xf bank_mask:0xf// 00000000D768: 0B9594FA FF015A1B
	v_mul_f32_dpp v203, v27, v203 row_newbcast:11 row_mask:0xf bank_mask:0xf// 00000000D770: 0B9796FA FF015B1B
	v_mul_f32_dpp v204, v27, v204 row_newbcast:12 row_mask:0xf bank_mask:0xf// 00000000D778: 0B9998FA FF015C1B
	v_mul_f32_dpp v205, v27, v205 row_newbcast:13 row_mask:0xf bank_mask:0xf// 00000000D780: 0B9B9AFA FF015D1B
	v_mul_f32_dpp v206, v27, v206 row_newbcast:14 row_mask:0xf bank_mask:0xf// 00000000D788: 0B9D9CFA FF015E1B
	v_mul_f32_dpp v207, v27, v207 row_newbcast:15 row_mask:0xf bank_mask:0xf// 00000000D790: 0B9F9EFA FF015F1B
	v_mul_f32_dpp v208, v27, v208 row_newbcast:12 row_mask:0xf bank_mask:0xf// 00000000D798: 0BA1A0FA FF015C1B
	v_mul_f32_dpp v209, v27, v209 row_newbcast:13 row_mask:0xf bank_mask:0xf// 00000000D7A0: 0BA3A2FA FF015D1B
	v_mul_f32_dpp v210, v27, v210 row_newbcast:14 row_mask:0xf bank_mask:0xf// 00000000D7A8: 0BA5A4FA FF015E1B
	v_mul_f32_dpp v211, v27, v211 row_newbcast:15 row_mask:0xf bank_mask:0xf// 00000000D7B0: 0BA7A6FA FF015F1B
	v_mul_f32_dpp v212, v27, v212 row_newbcast:12 row_mask:0xf bank_mask:0xf// 00000000D7B8: 0BA9A8FA FF015C1B
	v_mul_f32_dpp v213, v27, v213 row_newbcast:13 row_mask:0xf bank_mask:0xf// 00000000D7C0: 0BABAAFA FF015D1B
	v_mul_f32_dpp v214, v27, v214 row_newbcast:14 row_mask:0xf bank_mask:0xf// 00000000D7C8: 0BADACFA FF015E1B
	v_mul_f32_dpp v215, v27, v215 row_newbcast:15 row_mask:0xf bank_mask:0xf// 00000000D7D0: 0BAFAEFA FF015F1B
	v_mul_f32_dpp v216, v27, v216 row_newbcast:12 row_mask:0xf bank_mask:0xf// 00000000D7D8: 0BB1B0FA FF015C1B
	v_mul_f32_dpp v217, v27, v217 row_newbcast:13 row_mask:0xf bank_mask:0xf// 00000000D7E0: 0BB3B2FA FF015D1B
	v_mul_f32_dpp v218, v27, v218 row_newbcast:14 row_mask:0xf bank_mask:0xf// 00000000D7E8: 0BB5B4FA FF015E1B
	v_mul_f32_dpp v219, v27, v219 row_newbcast:15 row_mask:0xf bank_mask:0xf// 00000000D7F0: 0BB7B6FA FF015F1B
	v_mul_f32_dpp v220, v27, v220 row_newbcast:12 row_mask:0xf bank_mask:0xf// 00000000D7F8: 0BB9B8FA FF015C1B
	v_mul_f32_dpp v221, v27, v221 row_newbcast:13 row_mask:0xf bank_mask:0xf// 00000000D800: 0BBBBAFA FF015D1B
	v_mul_f32_dpp v222, v27, v222 row_newbcast:14 row_mask:0xf bank_mask:0xf// 00000000D808: 0BBDBCFA FF015E1B
	v_mul_f32_dpp v223, v27, v223 row_newbcast:15 row_mask:0xf bank_mask:0xf// 00000000D810: 0BBFBEFA FF015F1B
	v_mov_b32_e32 v4, v35                                      // 00000000D818: 7E080323
	v_mov_b32_e32 v5, v4                                       // 00000000D81C: 7E0A0304
	v_pk_mul_f32 v[64:65], v[4:5], v[64:65]                    // 00000000D820: D3B14040 18028104
	v_pk_mul_f32 v[144:145], v[4:5], v[144:145]                // 00000000D828: D3B14090 18032104
	v_pk_mul_f32 v[66:67], v[4:5], v[66:67]                    // 00000000D830: D3B14042 18028504
	v_pk_mul_f32 v[146:147], v[4:5], v[146:147]                // 00000000D838: D3B14092 18032504
	v_pk_mul_f32 v[84:85], v[4:5], v[84:85]                    // 00000000D840: D3B14054 1802A904
	v_pk_mul_f32 v[164:165], v[4:5], v[164:165]                // 00000000D848: D3B140A4 18034904
	v_pk_mul_f32 v[86:87], v[4:5], v[86:87]                    // 00000000D850: D3B14056 1802AD04
	v_pk_mul_f32 v[166:167], v[4:5], v[166:167]                // 00000000D858: D3B140A6 18034D04
	v_pk_mul_f32 v[104:105], v[4:5], v[104:105]                // 00000000D860: D3B14068 1802D104
	v_pk_mul_f32 v[184:185], v[4:5], v[184:185]                // 00000000D868: D3B140B8 18037104
	v_pk_mul_f32 v[106:107], v[4:5], v[106:107]                // 00000000D870: D3B1406A 1802D504
	v_pk_mul_f32 v[186:187], v[4:5], v[186:187]                // 00000000D878: D3B140BA 18037504
	v_pk_mul_f32 v[124:125], v[4:5], v[124:125]                // 00000000D880: D3B1407C 1802F904
	v_pk_mul_f32 v[204:205], v[4:5], v[204:205]                // 00000000D888: D3B140CC 18039904
	v_pk_mul_f32 v[126:127], v[4:5], v[126:127]                // 00000000D890: D3B1407E 1802FD04
	v_pk_mul_f32 v[206:207], v[4:5], v[206:207]                // 00000000D898: D3B140CE 18039D04
	v_mov_b32_e32 v4, v36                                      // 00000000D8A0: 7E080324
	v_mov_b32_e32 v5, v4                                       // 00000000D8A4: 7E0A0304
	v_pk_mul_f32 v[68:69], v[4:5], v[68:69]                    // 00000000D8A8: D3B14044 18028904
	v_pk_mul_f32 v[148:149], v[4:5], v[148:149]                // 00000000D8B0: D3B14094 18032904
	v_pk_mul_f32 v[70:71], v[4:5], v[70:71]                    // 00000000D8B8: D3B14046 18028D04
	v_pk_mul_f32 v[150:151], v[4:5], v[150:151]                // 00000000D8C0: D3B14096 18032D04
	v_pk_mul_f32 v[88:89], v[4:5], v[88:89]                    // 00000000D8C8: D3B14058 1802B104
	v_pk_mul_f32 v[168:169], v[4:5], v[168:169]                // 00000000D8D0: D3B140A8 18035104
	v_pk_mul_f32 v[90:91], v[4:5], v[90:91]                    // 00000000D8D8: D3B1405A 1802B504
	v_pk_mul_f32 v[170:171], v[4:5], v[170:171]                // 00000000D8E0: D3B140AA 18035504
	v_pk_mul_f32 v[108:109], v[4:5], v[108:109]                // 00000000D8E8: D3B1406C 1802D904
	v_pk_mul_f32 v[188:189], v[4:5], v[188:189]                // 00000000D8F0: D3B140BC 18037904
	v_pk_mul_f32 v[110:111], v[4:5], v[110:111]                // 00000000D8F8: D3B1406E 1802DD04
	v_pk_mul_f32 v[190:191], v[4:5], v[190:191]                // 00000000D900: D3B140BE 18037D04
	v_pk_mul_f32 v[128:129], v[4:5], v[128:129]                // 00000000D908: D3B14080 18030104
	v_pk_mul_f32 v[208:209], v[4:5], v[208:209]                // 00000000D910: D3B140D0 1803A104
	v_pk_mul_f32 v[130:131], v[4:5], v[130:131]                // 00000000D918: D3B14082 18030504
	v_pk_mul_f32 v[210:211], v[4:5], v[210:211]                // 00000000D920: D3B140D2 1803A504
	v_mov_b32_e32 v4, v37                                      // 00000000D928: 7E080325
	v_mov_b32_e32 v5, v4                                       // 00000000D92C: 7E0A0304
	v_pk_mul_f32 v[72:73], v[4:5], v[72:73]                    // 00000000D930: D3B14048 18029104
	v_pk_mul_f32 v[152:153], v[4:5], v[152:153]                // 00000000D938: D3B14098 18033104
	v_pk_mul_f32 v[74:75], v[4:5], v[74:75]                    // 00000000D940: D3B1404A 18029504
	v_pk_mul_f32 v[154:155], v[4:5], v[154:155]                // 00000000D948: D3B1409A 18033504
	v_pk_mul_f32 v[92:93], v[4:5], v[92:93]                    // 00000000D950: D3B1405C 1802B904
	v_pk_mul_f32 v[172:173], v[4:5], v[172:173]                // 00000000D958: D3B140AC 18035904
	v_pk_mul_f32 v[94:95], v[4:5], v[94:95]                    // 00000000D960: D3B1405E 1802BD04
	v_pk_mul_f32 v[174:175], v[4:5], v[174:175]                // 00000000D968: D3B140AE 18035D04
	v_pk_mul_f32 v[112:113], v[4:5], v[112:113]                // 00000000D970: D3B14070 1802E104
	v_pk_mul_f32 v[192:193], v[4:5], v[192:193]                // 00000000D978: D3B140C0 18038104
	v_pk_mul_f32 v[114:115], v[4:5], v[114:115]                // 00000000D980: D3B14072 1802E504
	v_pk_mul_f32 v[194:195], v[4:5], v[194:195]                // 00000000D988: D3B140C2 18038504
	v_pk_mul_f32 v[132:133], v[4:5], v[132:133]                // 00000000D990: D3B14084 18030904
	v_pk_mul_f32 v[212:213], v[4:5], v[212:213]                // 00000000D998: D3B140D4 1803A904
	v_pk_mul_f32 v[134:135], v[4:5], v[134:135]                // 00000000D9A0: D3B14086 18030D04
	v_pk_mul_f32 v[214:215], v[4:5], v[214:215]                // 00000000D9A8: D3B140D6 1803AD04
	v_mov_b32_e32 v4, v38                                      // 00000000D9B0: 7E080326
	v_mov_b32_e32 v5, v4                                       // 00000000D9B4: 7E0A0304
	v_pk_mul_f32 v[76:77], v[4:5], v[76:77]                    // 00000000D9B8: D3B1404C 18029904
	v_pk_mul_f32 v[156:157], v[4:5], v[156:157]                // 00000000D9C0: D3B1409C 18033904
	v_pk_mul_f32 v[78:79], v[4:5], v[78:79]                    // 00000000D9C8: D3B1404E 18029D04
	v_pk_mul_f32 v[158:159], v[4:5], v[158:159]                // 00000000D9D0: D3B1409E 18033D04
	v_pk_mul_f32 v[96:97], v[4:5], v[96:97]                    // 00000000D9D8: D3B14060 1802C104
	v_pk_mul_f32 v[176:177], v[4:5], v[176:177]                // 00000000D9E0: D3B140B0 18036104
	v_pk_mul_f32 v[98:99], v[4:5], v[98:99]                    // 00000000D9E8: D3B14062 1802C504
	v_pk_mul_f32 v[178:179], v[4:5], v[178:179]                // 00000000D9F0: D3B140B2 18036504
	v_pk_mul_f32 v[116:117], v[4:5], v[116:117]                // 00000000D9F8: D3B14074 1802E904
	v_pk_mul_f32 v[196:197], v[4:5], v[196:197]                // 00000000DA00: D3B140C4 18038904
	v_pk_mul_f32 v[118:119], v[4:5], v[118:119]                // 00000000DA08: D3B14076 1802ED04
	v_pk_mul_f32 v[198:199], v[4:5], v[198:199]                // 00000000DA10: D3B140C6 18038D04
	v_pk_mul_f32 v[136:137], v[4:5], v[136:137]                // 00000000DA18: D3B14088 18031104
	v_pk_mul_f32 v[216:217], v[4:5], v[216:217]                // 00000000DA20: D3B140D8 1803B104
	v_pk_mul_f32 v[138:139], v[4:5], v[138:139]                // 00000000DA28: D3B1408A 18031504
	v_pk_mul_f32 v[218:219], v[4:5], v[218:219]                // 00000000DA30: D3B140DA 1803B504
	v_mov_b32_e32 v4, v39                                      // 00000000DA38: 7E080327
	v_mov_b32_e32 v5, v4                                       // 00000000DA3C: 7E0A0304
	v_pk_mul_f32 v[80:81], v[4:5], v[80:81]                    // 00000000DA40: D3B14050 1802A104
	v_pk_mul_f32 v[160:161], v[4:5], v[160:161]                // 00000000DA48: D3B140A0 18034104
	v_pk_mul_f32 v[82:83], v[4:5], v[82:83]                    // 00000000DA50: D3B14052 1802A504
	v_pk_mul_f32 v[162:163], v[4:5], v[162:163]                // 00000000DA58: D3B140A2 18034504
	v_pk_mul_f32 v[100:101], v[4:5], v[100:101]                // 00000000DA60: D3B14064 1802C904
	v_pk_mul_f32 v[180:181], v[4:5], v[180:181]                // 00000000DA68: D3B140B4 18036904
	v_pk_mul_f32 v[102:103], v[4:5], v[102:103]                // 00000000DA70: D3B14066 1802CD04
	v_pk_mul_f32 v[182:183], v[4:5], v[182:183]                // 00000000DA78: D3B140B6 18036D04
	v_pk_mul_f32 v[120:121], v[4:5], v[120:121]                // 00000000DA80: D3B14078 1802F104
	v_pk_mul_f32 v[200:201], v[4:5], v[200:201]                // 00000000DA88: D3B140C8 18039104
	v_pk_mul_f32 v[122:123], v[4:5], v[122:123]                // 00000000DA90: D3B1407A 1802F504
	v_pk_mul_f32 v[202:203], v[4:5], v[202:203]                // 00000000DA98: D3B140CA 18039504
	v_pk_mul_f32 v[140:141], v[4:5], v[140:141]                // 00000000DAA0: D3B1408C 18031904
	v_pk_mul_f32 v[220:221], v[4:5], v[220:221]                // 00000000DAA8: D3B140DC 1803B904
	v_pk_mul_f32 v[142:143], v[4:5], v[142:143]                // 00000000DAB0: D3B1408E 18031D04
	v_pk_mul_f32 v[222:223], v[4:5], v[222:223]                // 00000000DAB8: D3B140DE 1803BD04
	s_cmp_eq_u32 s88, 0                                        // 00000000DAC0: BF068058
	s_cbranch_scc0 label_366A                                  // 00000000DAC4: BF840A35
	s_cmp_eq_u32 s89, 0                                        // 00000000DAC8: BF068059
	s_cbranch_scc1 label_2F5C                                  // 00000000DACC: BF850325
	v_mov_b32_e32 v8, v1                                       // 00000000DAD0: 7E100301
	v_mov_b32_e32 v9, v1                                       // 00000000DAD4: 7E120301
	s_mov_b32 s60, s6                                          // 00000000DAD8: BEBC0006
	s_mov_b32 s61, s6                                          // 00000000DADC: BEBD0006
	v_pk_mul_f32 v[4:5], v[64:65], v[64:65]                    // 00000000DAE0: D3B14004 18028140
	v_pk_mul_f32 v[6:7], v[66:67], v[66:67]                    // 00000000DAE8: D3B14006 18028542
	v_pk_fma_f32 v[4:5], v[4:5], s[78:79], v[8:9]              // 00000000DAF0: D3B04004 1C209D04
	v_pk_fma_f32 v[6:7], v[6:7], s[78:79], v[8:9]              // 00000000DAF8: D3B04006 1C209D06
	v_pk_mul_f32 v[4:5], v[4:5], v[64:65]                      // 00000000DB00: D3B14004 18028104
	v_pk_mul_f32 v[6:7], v[6:7], v[66:67]                      // 00000000DB08: D3B14006 18028506
	v_pk_mul_f32 v[4:5], v[4:5], s[60:61]                      // 00000000DB10: D3B14004 18007904
	v_pk_mul_f32 v[6:7], v[6:7], s[60:61]                      // 00000000DB18: D3B14006 18007906
	v_exp_f32_e32 v4, v4                                       // 00000000DB20: 7E084104
	v_exp_f32_e32 v5, v5                                       // 00000000DB24: 7E0A4105
	v_exp_f32_e32 v6, v6                                       // 00000000DB28: 7E0C4106
	v_exp_f32_e32 v7, v7                                       // 00000000DB2C: 7E0E4107
	v_add_f32_e64 v4, v4, 1.0                                  // 00000000DB30: D1010004 0001E504
	v_add_f32_e64 v5, v5, 1.0                                  // 00000000DB38: D1010005 0001E505
	v_add_f32_e64 v6, v6, 1.0                                  // 00000000DB40: D1010006 0001E506
	v_add_f32_e64 v7, v7, 1.0                                  // 00000000DB48: D1010007 0001E507
	v_rcp_f32_e32 v4, v4                                       // 00000000DB50: 7E084504
	v_rcp_f32_e32 v5, v5                                       // 00000000DB54: 7E0A4505
	v_rcp_f32_e32 v6, v6                                       // 00000000DB58: 7E0C4506
	v_rcp_f32_e32 v7, v7                                       // 00000000DB5C: 7E0E4507
	v_mul_f32_e32 v64, v64, v4                                 // 00000000DB60: 0A800940
	v_mul_f32_e32 v65, v65, v5                                 // 00000000DB64: 0A820B41
	v_mul_f32_e32 v66, v66, v6                                 // 00000000DB68: 0A840D42
	v_mul_f32_e32 v67, v67, v7                                 // 00000000DB6C: 0A860F43
	v_mul_f32_e32 v64, v64, v144                               // 00000000DB70: 0A812140
	v_mul_f32_e32 v65, v65, v145                               // 00000000DB74: 0A832341
	v_mul_f32_e32 v66, v66, v146                               // 00000000DB78: 0A852542
	v_mul_f32_e32 v67, v67, v147                               // 00000000DB7C: 0A872743
	v_pk_mul_f32 v[4:5], v[68:69], v[68:69]                    // 00000000DB80: D3B14004 18028944
	v_pk_mul_f32 v[6:7], v[70:71], v[70:71]                    // 00000000DB88: D3B14006 18028D46
	v_pk_fma_f32 v[4:5], v[4:5], s[78:79], v[8:9]              // 00000000DB90: D3B04004 1C209D04
	v_pk_fma_f32 v[6:7], v[6:7], s[78:79], v[8:9]              // 00000000DB98: D3B04006 1C209D06
	v_pk_mul_f32 v[4:5], v[4:5], v[68:69]                      // 00000000DBA0: D3B14004 18028904
	v_pk_mul_f32 v[6:7], v[6:7], v[70:71]                      // 00000000DBA8: D3B14006 18028D06
	v_pk_mul_f32 v[4:5], v[4:5], s[60:61]                      // 00000000DBB0: D3B14004 18007904
	v_pk_mul_f32 v[6:7], v[6:7], s[60:61]                      // 00000000DBB8: D3B14006 18007906
	v_exp_f32_e32 v4, v4                                       // 00000000DBC0: 7E084104
	v_exp_f32_e32 v5, v5                                       // 00000000DBC4: 7E0A4105
	v_exp_f32_e32 v6, v6                                       // 00000000DBC8: 7E0C4106
	v_exp_f32_e32 v7, v7                                       // 00000000DBCC: 7E0E4107
	v_add_f32_e64 v4, v4, 1.0                                  // 00000000DBD0: D1010004 0001E504
	v_add_f32_e64 v5, v5, 1.0                                  // 00000000DBD8: D1010005 0001E505
	v_add_f32_e64 v6, v6, 1.0                                  // 00000000DBE0: D1010006 0001E506
	v_add_f32_e64 v7, v7, 1.0                                  // 00000000DBE8: D1010007 0001E507
	v_rcp_f32_e32 v4, v4                                       // 00000000DBF0: 7E084504
	v_rcp_f32_e32 v5, v5                                       // 00000000DBF4: 7E0A4505
	v_rcp_f32_e32 v6, v6                                       // 00000000DBF8: 7E0C4506
	v_rcp_f32_e32 v7, v7                                       // 00000000DBFC: 7E0E4507
	v_mul_f32_e32 v68, v68, v4                                 // 00000000DC00: 0A880944
	v_mul_f32_e32 v69, v69, v5                                 // 00000000DC04: 0A8A0B45
	v_mul_f32_e32 v70, v70, v6                                 // 00000000DC08: 0A8C0D46
	v_mul_f32_e32 v71, v71, v7                                 // 00000000DC0C: 0A8E0F47
	v_mul_f32_e32 v68, v68, v148                               // 00000000DC10: 0A892944
	v_mul_f32_e32 v69, v69, v149                               // 00000000DC14: 0A8B2B45
	v_mul_f32_e32 v70, v70, v150                               // 00000000DC18: 0A8D2D46
	v_mul_f32_e32 v71, v71, v151                               // 00000000DC1C: 0A8F2F47
	v_pk_mul_f32 v[4:5], v[72:73], v[72:73]                    // 00000000DC20: D3B14004 18029148
	v_pk_mul_f32 v[6:7], v[74:75], v[74:75]                    // 00000000DC28: D3B14006 1802954A
	v_pk_fma_f32 v[4:5], v[4:5], s[78:79], v[8:9]              // 00000000DC30: D3B04004 1C209D04
	v_pk_fma_f32 v[6:7], v[6:7], s[78:79], v[8:9]              // 00000000DC38: D3B04006 1C209D06
	v_pk_mul_f32 v[4:5], v[4:5], v[72:73]                      // 00000000DC40: D3B14004 18029104
	v_pk_mul_f32 v[6:7], v[6:7], v[74:75]                      // 00000000DC48: D3B14006 18029506
	v_pk_mul_f32 v[4:5], v[4:5], s[60:61]                      // 00000000DC50: D3B14004 18007904
	v_pk_mul_f32 v[6:7], v[6:7], s[60:61]                      // 00000000DC58: D3B14006 18007906
	v_exp_f32_e32 v4, v4                                       // 00000000DC60: 7E084104
	v_exp_f32_e32 v5, v5                                       // 00000000DC64: 7E0A4105
	v_exp_f32_e32 v6, v6                                       // 00000000DC68: 7E0C4106
	v_exp_f32_e32 v7, v7                                       // 00000000DC6C: 7E0E4107
	v_add_f32_e64 v4, v4, 1.0                                  // 00000000DC70: D1010004 0001E504
	v_add_f32_e64 v5, v5, 1.0                                  // 00000000DC78: D1010005 0001E505
	v_add_f32_e64 v6, v6, 1.0                                  // 00000000DC80: D1010006 0001E506
	v_add_f32_e64 v7, v7, 1.0                                  // 00000000DC88: D1010007 0001E507
	v_rcp_f32_e32 v4, v4                                       // 00000000DC90: 7E084504
	v_rcp_f32_e32 v5, v5                                       // 00000000DC94: 7E0A4505
	v_rcp_f32_e32 v6, v6                                       // 00000000DC98: 7E0C4506
	v_rcp_f32_e32 v7, v7                                       // 00000000DC9C: 7E0E4507
	v_mul_f32_e32 v72, v72, v4                                 // 00000000DCA0: 0A900948
	v_mul_f32_e32 v73, v73, v5                                 // 00000000DCA4: 0A920B49
	v_mul_f32_e32 v74, v74, v6                                 // 00000000DCA8: 0A940D4A
	v_mul_f32_e32 v75, v75, v7                                 // 00000000DCAC: 0A960F4B
	v_mul_f32_e32 v72, v72, v152                               // 00000000DCB0: 0A913148
	v_mul_f32_e32 v73, v73, v153                               // 00000000DCB4: 0A933349
	v_mul_f32_e32 v74, v74, v154                               // 00000000DCB8: 0A95354A
	v_mul_f32_e32 v75, v75, v155                               // 00000000DCBC: 0A97374B
	v_pk_mul_f32 v[4:5], v[76:77], v[76:77]                    // 00000000DCC0: D3B14004 1802994C
	v_pk_mul_f32 v[6:7], v[78:79], v[78:79]                    // 00000000DCC8: D3B14006 18029D4E
	v_pk_fma_f32 v[4:5], v[4:5], s[78:79], v[8:9]              // 00000000DCD0: D3B04004 1C209D04
	v_pk_fma_f32 v[6:7], v[6:7], s[78:79], v[8:9]              // 00000000DCD8: D3B04006 1C209D06
	v_pk_mul_f32 v[4:5], v[4:5], v[76:77]                      // 00000000DCE0: D3B14004 18029904
	v_pk_mul_f32 v[6:7], v[6:7], v[78:79]                      // 00000000DCE8: D3B14006 18029D06
	v_pk_mul_f32 v[4:5], v[4:5], s[60:61]                      // 00000000DCF0: D3B14004 18007904
	v_pk_mul_f32 v[6:7], v[6:7], s[60:61]                      // 00000000DCF8: D3B14006 18007906
	v_exp_f32_e32 v4, v4                                       // 00000000DD00: 7E084104
	v_exp_f32_e32 v5, v5                                       // 00000000DD04: 7E0A4105
	v_exp_f32_e32 v6, v6                                       // 00000000DD08: 7E0C4106
	v_exp_f32_e32 v7, v7                                       // 00000000DD0C: 7E0E4107
	v_add_f32_e64 v4, v4, 1.0                                  // 00000000DD10: D1010004 0001E504
	v_add_f32_e64 v5, v5, 1.0                                  // 00000000DD18: D1010005 0001E505
	v_add_f32_e64 v6, v6, 1.0                                  // 00000000DD20: D1010006 0001E506
	v_add_f32_e64 v7, v7, 1.0                                  // 00000000DD28: D1010007 0001E507
	v_rcp_f32_e32 v4, v4                                       // 00000000DD30: 7E084504
	v_rcp_f32_e32 v5, v5                                       // 00000000DD34: 7E0A4505
	v_rcp_f32_e32 v6, v6                                       // 00000000DD38: 7E0C4506
	v_rcp_f32_e32 v7, v7                                       // 00000000DD3C: 7E0E4507
	v_mul_f32_e32 v76, v76, v4                                 // 00000000DD40: 0A98094C
	v_mul_f32_e32 v77, v77, v5                                 // 00000000DD44: 0A9A0B4D
	v_mul_f32_e32 v78, v78, v6                                 // 00000000DD48: 0A9C0D4E
	v_mul_f32_e32 v79, v79, v7                                 // 00000000DD4C: 0A9E0F4F
	v_mul_f32_e32 v76, v76, v156                               // 00000000DD50: 0A99394C
	v_mul_f32_e32 v77, v77, v157                               // 00000000DD54: 0A9B3B4D
	v_mul_f32_e32 v78, v78, v158                               // 00000000DD58: 0A9D3D4E
	v_mul_f32_e32 v79, v79, v159                               // 00000000DD5C: 0A9F3F4F
	v_pk_mul_f32 v[4:5], v[80:81], v[80:81]                    // 00000000DD60: D3B14004 1802A150
	v_pk_mul_f32 v[6:7], v[82:83], v[82:83]                    // 00000000DD68: D3B14006 1802A552
	v_pk_fma_f32 v[4:5], v[4:5], s[78:79], v[8:9]              // 00000000DD70: D3B04004 1C209D04
	v_pk_fma_f32 v[6:7], v[6:7], s[78:79], v[8:9]              // 00000000DD78: D3B04006 1C209D06
	v_pk_mul_f32 v[4:5], v[4:5], v[80:81]                      // 00000000DD80: D3B14004 1802A104
	v_pk_mul_f32 v[6:7], v[6:7], v[82:83]                      // 00000000DD88: D3B14006 1802A506
	v_pk_mul_f32 v[4:5], v[4:5], s[60:61]                      // 00000000DD90: D3B14004 18007904
	v_pk_mul_f32 v[6:7], v[6:7], s[60:61]                      // 00000000DD98: D3B14006 18007906
	v_exp_f32_e32 v4, v4                                       // 00000000DDA0: 7E084104
	v_exp_f32_e32 v5, v5                                       // 00000000DDA4: 7E0A4105
	v_exp_f32_e32 v6, v6                                       // 00000000DDA8: 7E0C4106
	v_exp_f32_e32 v7, v7                                       // 00000000DDAC: 7E0E4107
	v_add_f32_e64 v4, v4, 1.0                                  // 00000000DDB0: D1010004 0001E504
	v_add_f32_e64 v5, v5, 1.0                                  // 00000000DDB8: D1010005 0001E505
	v_add_f32_e64 v6, v6, 1.0                                  // 00000000DDC0: D1010006 0001E506
	v_add_f32_e64 v7, v7, 1.0                                  // 00000000DDC8: D1010007 0001E507
	v_rcp_f32_e32 v4, v4                                       // 00000000DDD0: 7E084504
	v_rcp_f32_e32 v5, v5                                       // 00000000DDD4: 7E0A4505
	v_rcp_f32_e32 v6, v6                                       // 00000000DDD8: 7E0C4506
	v_rcp_f32_e32 v7, v7                                       // 00000000DDDC: 7E0E4507
	v_mul_f32_e32 v80, v80, v4                                 // 00000000DDE0: 0AA00950
	v_mul_f32_e32 v81, v81, v5                                 // 00000000DDE4: 0AA20B51
	v_mul_f32_e32 v82, v82, v6                                 // 00000000DDE8: 0AA40D52
	v_mul_f32_e32 v83, v83, v7                                 // 00000000DDEC: 0AA60F53
	v_mul_f32_e32 v80, v80, v160                               // 00000000DDF0: 0AA14150
	v_mul_f32_e32 v81, v81, v161                               // 00000000DDF4: 0AA34351
	v_mul_f32_e32 v82, v82, v162                               // 00000000DDF8: 0AA54552
	v_mul_f32_e32 v83, v83, v163                               // 00000000DDFC: 0AA74753
	v_pk_mul_f32 v[4:5], v[84:85], v[84:85]                    // 00000000DE00: D3B14004 1802A954
	v_pk_mul_f32 v[6:7], v[86:87], v[86:87]                    // 00000000DE08: D3B14006 1802AD56
	v_pk_fma_f32 v[4:5], v[4:5], s[78:79], v[8:9]              // 00000000DE10: D3B04004 1C209D04
	v_pk_fma_f32 v[6:7], v[6:7], s[78:79], v[8:9]              // 00000000DE18: D3B04006 1C209D06
	v_pk_mul_f32 v[4:5], v[4:5], v[84:85]                      // 00000000DE20: D3B14004 1802A904
	v_pk_mul_f32 v[6:7], v[6:7], v[86:87]                      // 00000000DE28: D3B14006 1802AD06
	v_pk_mul_f32 v[4:5], v[4:5], s[60:61]                      // 00000000DE30: D3B14004 18007904
	v_pk_mul_f32 v[6:7], v[6:7], s[60:61]                      // 00000000DE38: D3B14006 18007906
	v_exp_f32_e32 v4, v4                                       // 00000000DE40: 7E084104
	v_exp_f32_e32 v5, v5                                       // 00000000DE44: 7E0A4105
	v_exp_f32_e32 v6, v6                                       // 00000000DE48: 7E0C4106
	v_exp_f32_e32 v7, v7                                       // 00000000DE4C: 7E0E4107
	v_add_f32_e64 v4, v4, 1.0                                  // 00000000DE50: D1010004 0001E504
	v_add_f32_e64 v5, v5, 1.0                                  // 00000000DE58: D1010005 0001E505
	v_add_f32_e64 v6, v6, 1.0                                  // 00000000DE60: D1010006 0001E506
	v_add_f32_e64 v7, v7, 1.0                                  // 00000000DE68: D1010007 0001E507
	v_rcp_f32_e32 v4, v4                                       // 00000000DE70: 7E084504
	v_rcp_f32_e32 v5, v5                                       // 00000000DE74: 7E0A4505
	v_rcp_f32_e32 v6, v6                                       // 00000000DE78: 7E0C4506
	v_rcp_f32_e32 v7, v7                                       // 00000000DE7C: 7E0E4507
	v_mul_f32_e32 v84, v84, v4                                 // 00000000DE80: 0AA80954
	v_mul_f32_e32 v85, v85, v5                                 // 00000000DE84: 0AAA0B55
	v_mul_f32_e32 v86, v86, v6                                 // 00000000DE88: 0AAC0D56
	v_mul_f32_e32 v87, v87, v7                                 // 00000000DE8C: 0AAE0F57
	v_mul_f32_e32 v84, v84, v164                               // 00000000DE90: 0AA94954
	v_mul_f32_e32 v85, v85, v165                               // 00000000DE94: 0AAB4B55
	v_mul_f32_e32 v86, v86, v166                               // 00000000DE98: 0AAD4D56
	v_mul_f32_e32 v87, v87, v167                               // 00000000DE9C: 0AAF4F57
	v_pk_mul_f32 v[4:5], v[88:89], v[88:89]                    // 00000000DEA0: D3B14004 1802B158
	v_pk_mul_f32 v[6:7], v[90:91], v[90:91]                    // 00000000DEA8: D3B14006 1802B55A
	v_pk_fma_f32 v[4:5], v[4:5], s[78:79], v[8:9]              // 00000000DEB0: D3B04004 1C209D04
	v_pk_fma_f32 v[6:7], v[6:7], s[78:79], v[8:9]              // 00000000DEB8: D3B04006 1C209D06
	v_pk_mul_f32 v[4:5], v[4:5], v[88:89]                      // 00000000DEC0: D3B14004 1802B104
	v_pk_mul_f32 v[6:7], v[6:7], v[90:91]                      // 00000000DEC8: D3B14006 1802B506
	v_pk_mul_f32 v[4:5], v[4:5], s[60:61]                      // 00000000DED0: D3B14004 18007904
	v_pk_mul_f32 v[6:7], v[6:7], s[60:61]                      // 00000000DED8: D3B14006 18007906
	v_exp_f32_e32 v4, v4                                       // 00000000DEE0: 7E084104
	v_exp_f32_e32 v5, v5                                       // 00000000DEE4: 7E0A4105
	v_exp_f32_e32 v6, v6                                       // 00000000DEE8: 7E0C4106
	v_exp_f32_e32 v7, v7                                       // 00000000DEEC: 7E0E4107
	v_add_f32_e64 v4, v4, 1.0                                  // 00000000DEF0: D1010004 0001E504
	v_add_f32_e64 v5, v5, 1.0                                  // 00000000DEF8: D1010005 0001E505
	v_add_f32_e64 v6, v6, 1.0                                  // 00000000DF00: D1010006 0001E506
	v_add_f32_e64 v7, v7, 1.0                                  // 00000000DF08: D1010007 0001E507
	v_rcp_f32_e32 v4, v4                                       // 00000000DF10: 7E084504
	v_rcp_f32_e32 v5, v5                                       // 00000000DF14: 7E0A4505
	v_rcp_f32_e32 v6, v6                                       // 00000000DF18: 7E0C4506
	v_rcp_f32_e32 v7, v7                                       // 00000000DF1C: 7E0E4507
	v_mul_f32_e32 v88, v88, v4                                 // 00000000DF20: 0AB00958
	v_mul_f32_e32 v89, v89, v5                                 // 00000000DF24: 0AB20B59
	v_mul_f32_e32 v90, v90, v6                                 // 00000000DF28: 0AB40D5A
	v_mul_f32_e32 v91, v91, v7                                 // 00000000DF2C: 0AB60F5B
	v_mul_f32_e32 v88, v88, v168                               // 00000000DF30: 0AB15158
	v_mul_f32_e32 v89, v89, v169                               // 00000000DF34: 0AB35359
	v_mul_f32_e32 v90, v90, v170                               // 00000000DF38: 0AB5555A
	v_mul_f32_e32 v91, v91, v171                               // 00000000DF3C: 0AB7575B
	v_pk_mul_f32 v[4:5], v[92:93], v[92:93]                    // 00000000DF40: D3B14004 1802B95C
	v_pk_mul_f32 v[6:7], v[94:95], v[94:95]                    // 00000000DF48: D3B14006 1802BD5E
	v_pk_fma_f32 v[4:5], v[4:5], s[78:79], v[8:9]              // 00000000DF50: D3B04004 1C209D04
	v_pk_fma_f32 v[6:7], v[6:7], s[78:79], v[8:9]              // 00000000DF58: D3B04006 1C209D06
	v_pk_mul_f32 v[4:5], v[4:5], v[92:93]                      // 00000000DF60: D3B14004 1802B904
	v_pk_mul_f32 v[6:7], v[6:7], v[94:95]                      // 00000000DF68: D3B14006 1802BD06
	v_pk_mul_f32 v[4:5], v[4:5], s[60:61]                      // 00000000DF70: D3B14004 18007904
	v_pk_mul_f32 v[6:7], v[6:7], s[60:61]                      // 00000000DF78: D3B14006 18007906
	v_exp_f32_e32 v4, v4                                       // 00000000DF80: 7E084104
	v_exp_f32_e32 v5, v5                                       // 00000000DF84: 7E0A4105
	v_exp_f32_e32 v6, v6                                       // 00000000DF88: 7E0C4106
	v_exp_f32_e32 v7, v7                                       // 00000000DF8C: 7E0E4107
	v_add_f32_e64 v4, v4, 1.0                                  // 00000000DF90: D1010004 0001E504
	v_add_f32_e64 v5, v5, 1.0                                  // 00000000DF98: D1010005 0001E505
	v_add_f32_e64 v6, v6, 1.0                                  // 00000000DFA0: D1010006 0001E506
	v_add_f32_e64 v7, v7, 1.0                                  // 00000000DFA8: D1010007 0001E507
	v_rcp_f32_e32 v4, v4                                       // 00000000DFB0: 7E084504
	v_rcp_f32_e32 v5, v5                                       // 00000000DFB4: 7E0A4505
	v_rcp_f32_e32 v6, v6                                       // 00000000DFB8: 7E0C4506
	v_rcp_f32_e32 v7, v7                                       // 00000000DFBC: 7E0E4507
	v_mul_f32_e32 v92, v92, v4                                 // 00000000DFC0: 0AB8095C
	v_mul_f32_e32 v93, v93, v5                                 // 00000000DFC4: 0ABA0B5D
	v_mul_f32_e32 v94, v94, v6                                 // 00000000DFC8: 0ABC0D5E
	v_mul_f32_e32 v95, v95, v7                                 // 00000000DFCC: 0ABE0F5F
	v_mul_f32_e32 v92, v92, v172                               // 00000000DFD0: 0AB9595C
	v_mul_f32_e32 v93, v93, v173                               // 00000000DFD4: 0ABB5B5D
	v_mul_f32_e32 v94, v94, v174                               // 00000000DFD8: 0ABD5D5E
	v_mul_f32_e32 v95, v95, v175                               // 00000000DFDC: 0ABF5F5F
	v_pk_mul_f32 v[4:5], v[96:97], v[96:97]                    // 00000000DFE0: D3B14004 1802C160
	v_pk_mul_f32 v[6:7], v[98:99], v[98:99]                    // 00000000DFE8: D3B14006 1802C562
	v_pk_fma_f32 v[4:5], v[4:5], s[78:79], v[8:9]              // 00000000DFF0: D3B04004 1C209D04
	v_pk_fma_f32 v[6:7], v[6:7], s[78:79], v[8:9]              // 00000000DFF8: D3B04006 1C209D06
	v_pk_mul_f32 v[4:5], v[4:5], v[96:97]                      // 00000000E000: D3B14004 1802C104
	v_pk_mul_f32 v[6:7], v[6:7], v[98:99]                      // 00000000E008: D3B14006 1802C506
	v_pk_mul_f32 v[4:5], v[4:5], s[60:61]                      // 00000000E010: D3B14004 18007904
	v_pk_mul_f32 v[6:7], v[6:7], s[60:61]                      // 00000000E018: D3B14006 18007906
	v_exp_f32_e32 v4, v4                                       // 00000000E020: 7E084104
	v_exp_f32_e32 v5, v5                                       // 00000000E024: 7E0A4105
	v_exp_f32_e32 v6, v6                                       // 00000000E028: 7E0C4106
	v_exp_f32_e32 v7, v7                                       // 00000000E02C: 7E0E4107
	v_add_f32_e64 v4, v4, 1.0                                  // 00000000E030: D1010004 0001E504
	v_add_f32_e64 v5, v5, 1.0                                  // 00000000E038: D1010005 0001E505
	v_add_f32_e64 v6, v6, 1.0                                  // 00000000E040: D1010006 0001E506
	v_add_f32_e64 v7, v7, 1.0                                  // 00000000E048: D1010007 0001E507
	v_rcp_f32_e32 v4, v4                                       // 00000000E050: 7E084504
	v_rcp_f32_e32 v5, v5                                       // 00000000E054: 7E0A4505
	v_rcp_f32_e32 v6, v6                                       // 00000000E058: 7E0C4506
	v_rcp_f32_e32 v7, v7                                       // 00000000E05C: 7E0E4507
	v_mul_f32_e32 v96, v96, v4                                 // 00000000E060: 0AC00960
	v_mul_f32_e32 v97, v97, v5                                 // 00000000E064: 0AC20B61
	v_mul_f32_e32 v98, v98, v6                                 // 00000000E068: 0AC40D62
	v_mul_f32_e32 v99, v99, v7                                 // 00000000E06C: 0AC60F63
	v_mul_f32_e32 v96, v96, v176                               // 00000000E070: 0AC16160
	v_mul_f32_e32 v97, v97, v177                               // 00000000E074: 0AC36361
	v_mul_f32_e32 v98, v98, v178                               // 00000000E078: 0AC56562
	v_mul_f32_e32 v99, v99, v179                               // 00000000E07C: 0AC76763
	v_pk_mul_f32 v[4:5], v[100:101], v[100:101]                // 00000000E080: D3B14004 1802C964
	v_pk_mul_f32 v[6:7], v[102:103], v[102:103]                // 00000000E088: D3B14006 1802CD66
	v_pk_fma_f32 v[4:5], v[4:5], s[78:79], v[8:9]              // 00000000E090: D3B04004 1C209D04
	v_pk_fma_f32 v[6:7], v[6:7], s[78:79], v[8:9]              // 00000000E098: D3B04006 1C209D06
	v_pk_mul_f32 v[4:5], v[4:5], v[100:101]                    // 00000000E0A0: D3B14004 1802C904
	v_pk_mul_f32 v[6:7], v[6:7], v[102:103]                    // 00000000E0A8: D3B14006 1802CD06
	v_pk_mul_f32 v[4:5], v[4:5], s[60:61]                      // 00000000E0B0: D3B14004 18007904
	v_pk_mul_f32 v[6:7], v[6:7], s[60:61]                      // 00000000E0B8: D3B14006 18007906
	v_exp_f32_e32 v4, v4                                       // 00000000E0C0: 7E084104
	v_exp_f32_e32 v5, v5                                       // 00000000E0C4: 7E0A4105
	v_exp_f32_e32 v6, v6                                       // 00000000E0C8: 7E0C4106
	v_exp_f32_e32 v7, v7                                       // 00000000E0CC: 7E0E4107
	v_add_f32_e64 v4, v4, 1.0                                  // 00000000E0D0: D1010004 0001E504
	v_add_f32_e64 v5, v5, 1.0                                  // 00000000E0D8: D1010005 0001E505
	v_add_f32_e64 v6, v6, 1.0                                  // 00000000E0E0: D1010006 0001E506
	v_add_f32_e64 v7, v7, 1.0                                  // 00000000E0E8: D1010007 0001E507
	v_rcp_f32_e32 v4, v4                                       // 00000000E0F0: 7E084504
	v_rcp_f32_e32 v5, v5                                       // 00000000E0F4: 7E0A4505
	v_rcp_f32_e32 v6, v6                                       // 00000000E0F8: 7E0C4506
	v_rcp_f32_e32 v7, v7                                       // 00000000E0FC: 7E0E4507
	v_mul_f32_e32 v100, v100, v4                               // 00000000E100: 0AC80964
	v_mul_f32_e32 v101, v101, v5                               // 00000000E104: 0ACA0B65
	v_mul_f32_e32 v102, v102, v6                               // 00000000E108: 0ACC0D66
	v_mul_f32_e32 v103, v103, v7                               // 00000000E10C: 0ACE0F67
	v_mul_f32_e32 v100, v100, v180                             // 00000000E110: 0AC96964
	v_mul_f32_e32 v101, v101, v181                             // 00000000E114: 0ACB6B65
	v_mul_f32_e32 v102, v102, v182                             // 00000000E118: 0ACD6D66
	v_mul_f32_e32 v103, v103, v183                             // 00000000E11C: 0ACF6F67
	v_pk_mul_f32 v[4:5], v[104:105], v[104:105]                // 00000000E120: D3B14004 1802D168
	v_pk_mul_f32 v[6:7], v[106:107], v[106:107]                // 00000000E128: D3B14006 1802D56A
	v_pk_fma_f32 v[4:5], v[4:5], s[78:79], v[8:9]              // 00000000E130: D3B04004 1C209D04
	v_pk_fma_f32 v[6:7], v[6:7], s[78:79], v[8:9]              // 00000000E138: D3B04006 1C209D06
	v_pk_mul_f32 v[4:5], v[4:5], v[104:105]                    // 00000000E140: D3B14004 1802D104
	v_pk_mul_f32 v[6:7], v[6:7], v[106:107]                    // 00000000E148: D3B14006 1802D506
	v_pk_mul_f32 v[4:5], v[4:5], s[60:61]                      // 00000000E150: D3B14004 18007904
	v_pk_mul_f32 v[6:7], v[6:7], s[60:61]                      // 00000000E158: D3B14006 18007906
	v_exp_f32_e32 v4, v4                                       // 00000000E160: 7E084104
	v_exp_f32_e32 v5, v5                                       // 00000000E164: 7E0A4105
	v_exp_f32_e32 v6, v6                                       // 00000000E168: 7E0C4106
	v_exp_f32_e32 v7, v7                                       // 00000000E16C: 7E0E4107
	v_add_f32_e64 v4, v4, 1.0                                  // 00000000E170: D1010004 0001E504
	v_add_f32_e64 v5, v5, 1.0                                  // 00000000E178: D1010005 0001E505
	v_add_f32_e64 v6, v6, 1.0                                  // 00000000E180: D1010006 0001E506
	v_add_f32_e64 v7, v7, 1.0                                  // 00000000E188: D1010007 0001E507
	v_rcp_f32_e32 v4, v4                                       // 00000000E190: 7E084504
	v_rcp_f32_e32 v5, v5                                       // 00000000E194: 7E0A4505
	v_rcp_f32_e32 v6, v6                                       // 00000000E198: 7E0C4506
	v_rcp_f32_e32 v7, v7                                       // 00000000E19C: 7E0E4507
	v_mul_f32_e32 v104, v104, v4                               // 00000000E1A0: 0AD00968
	v_mul_f32_e32 v105, v105, v5                               // 00000000E1A4: 0AD20B69
	v_mul_f32_e32 v106, v106, v6                               // 00000000E1A8: 0AD40D6A
	v_mul_f32_e32 v107, v107, v7                               // 00000000E1AC: 0AD60F6B
	v_mul_f32_e32 v104, v104, v184                             // 00000000E1B0: 0AD17168
	v_mul_f32_e32 v105, v105, v185                             // 00000000E1B4: 0AD37369
	v_mul_f32_e32 v106, v106, v186                             // 00000000E1B8: 0AD5756A
	v_mul_f32_e32 v107, v107, v187                             // 00000000E1BC: 0AD7776B
	v_pk_mul_f32 v[4:5], v[108:109], v[108:109]                // 00000000E1C0: D3B14004 1802D96C
	v_pk_mul_f32 v[6:7], v[110:111], v[110:111]                // 00000000E1C8: D3B14006 1802DD6E
	v_pk_fma_f32 v[4:5], v[4:5], s[78:79], v[8:9]              // 00000000E1D0: D3B04004 1C209D04
	v_pk_fma_f32 v[6:7], v[6:7], s[78:79], v[8:9]              // 00000000E1D8: D3B04006 1C209D06
	v_pk_mul_f32 v[4:5], v[4:5], v[108:109]                    // 00000000E1E0: D3B14004 1802D904
	v_pk_mul_f32 v[6:7], v[6:7], v[110:111]                    // 00000000E1E8: D3B14006 1802DD06
	v_pk_mul_f32 v[4:5], v[4:5], s[60:61]                      // 00000000E1F0: D3B14004 18007904
	v_pk_mul_f32 v[6:7], v[6:7], s[60:61]                      // 00000000E1F8: D3B14006 18007906
	v_exp_f32_e32 v4, v4                                       // 00000000E200: 7E084104
	v_exp_f32_e32 v5, v5                                       // 00000000E204: 7E0A4105
	v_exp_f32_e32 v6, v6                                       // 00000000E208: 7E0C4106
	v_exp_f32_e32 v7, v7                                       // 00000000E20C: 7E0E4107
	v_add_f32_e64 v4, v4, 1.0                                  // 00000000E210: D1010004 0001E504
	v_add_f32_e64 v5, v5, 1.0                                  // 00000000E218: D1010005 0001E505
	v_add_f32_e64 v6, v6, 1.0                                  // 00000000E220: D1010006 0001E506
	v_add_f32_e64 v7, v7, 1.0                                  // 00000000E228: D1010007 0001E507
	v_rcp_f32_e32 v4, v4                                       // 00000000E230: 7E084504
	v_rcp_f32_e32 v5, v5                                       // 00000000E234: 7E0A4505
	v_rcp_f32_e32 v6, v6                                       // 00000000E238: 7E0C4506
	v_rcp_f32_e32 v7, v7                                       // 00000000E23C: 7E0E4507
	v_mul_f32_e32 v108, v108, v4                               // 00000000E240: 0AD8096C
	v_mul_f32_e32 v109, v109, v5                               // 00000000E244: 0ADA0B6D
	v_mul_f32_e32 v110, v110, v6                               // 00000000E248: 0ADC0D6E
	v_mul_f32_e32 v111, v111, v7                               // 00000000E24C: 0ADE0F6F
	v_mul_f32_e32 v108, v108, v188                             // 00000000E250: 0AD9796C
	v_mul_f32_e32 v109, v109, v189                             // 00000000E254: 0ADB7B6D
	v_mul_f32_e32 v110, v110, v190                             // 00000000E258: 0ADD7D6E
	v_mul_f32_e32 v111, v111, v191                             // 00000000E25C: 0ADF7F6F
	v_pk_mul_f32 v[4:5], v[112:113], v[112:113]                // 00000000E260: D3B14004 1802E170
	v_pk_mul_f32 v[6:7], v[114:115], v[114:115]                // 00000000E268: D3B14006 1802E572
	v_pk_fma_f32 v[4:5], v[4:5], s[78:79], v[8:9]              // 00000000E270: D3B04004 1C209D04
	v_pk_fma_f32 v[6:7], v[6:7], s[78:79], v[8:9]              // 00000000E278: D3B04006 1C209D06
	v_pk_mul_f32 v[4:5], v[4:5], v[112:113]                    // 00000000E280: D3B14004 1802E104
	v_pk_mul_f32 v[6:7], v[6:7], v[114:115]                    // 00000000E288: D3B14006 1802E506
	v_pk_mul_f32 v[4:5], v[4:5], s[60:61]                      // 00000000E290: D3B14004 18007904
	v_pk_mul_f32 v[6:7], v[6:7], s[60:61]                      // 00000000E298: D3B14006 18007906
	v_exp_f32_e32 v4, v4                                       // 00000000E2A0: 7E084104
	v_exp_f32_e32 v5, v5                                       // 00000000E2A4: 7E0A4105
	v_exp_f32_e32 v6, v6                                       // 00000000E2A8: 7E0C4106
	v_exp_f32_e32 v7, v7                                       // 00000000E2AC: 7E0E4107
	v_add_f32_e64 v4, v4, 1.0                                  // 00000000E2B0: D1010004 0001E504
	v_add_f32_e64 v5, v5, 1.0                                  // 00000000E2B8: D1010005 0001E505
	v_add_f32_e64 v6, v6, 1.0                                  // 00000000E2C0: D1010006 0001E506
	v_add_f32_e64 v7, v7, 1.0                                  // 00000000E2C8: D1010007 0001E507
	v_rcp_f32_e32 v4, v4                                       // 00000000E2D0: 7E084504
	v_rcp_f32_e32 v5, v5                                       // 00000000E2D4: 7E0A4505
	v_rcp_f32_e32 v6, v6                                       // 00000000E2D8: 7E0C4506
	v_rcp_f32_e32 v7, v7                                       // 00000000E2DC: 7E0E4507
	v_mul_f32_e32 v112, v112, v4                               // 00000000E2E0: 0AE00970
	v_mul_f32_e32 v113, v113, v5                               // 00000000E2E4: 0AE20B71
	v_mul_f32_e32 v114, v114, v6                               // 00000000E2E8: 0AE40D72
	v_mul_f32_e32 v115, v115, v7                               // 00000000E2EC: 0AE60F73
	v_mul_f32_e32 v112, v112, v192                             // 00000000E2F0: 0AE18170
	v_mul_f32_e32 v113, v113, v193                             // 00000000E2F4: 0AE38371
	v_mul_f32_e32 v114, v114, v194                             // 00000000E2F8: 0AE58572
	v_mul_f32_e32 v115, v115, v195                             // 00000000E2FC: 0AE78773
	v_pk_mul_f32 v[4:5], v[116:117], v[116:117]                // 00000000E300: D3B14004 1802E974
	v_pk_mul_f32 v[6:7], v[118:119], v[118:119]                // 00000000E308: D3B14006 1802ED76
	v_pk_fma_f32 v[4:5], v[4:5], s[78:79], v[8:9]              // 00000000E310: D3B04004 1C209D04
	v_pk_fma_f32 v[6:7], v[6:7], s[78:79], v[8:9]              // 00000000E318: D3B04006 1C209D06
	v_pk_mul_f32 v[4:5], v[4:5], v[116:117]                    // 00000000E320: D3B14004 1802E904
	v_pk_mul_f32 v[6:7], v[6:7], v[118:119]                    // 00000000E328: D3B14006 1802ED06
	v_pk_mul_f32 v[4:5], v[4:5], s[60:61]                      // 00000000E330: D3B14004 18007904
	v_pk_mul_f32 v[6:7], v[6:7], s[60:61]                      // 00000000E338: D3B14006 18007906
	v_exp_f32_e32 v4, v4                                       // 00000000E340: 7E084104
	v_exp_f32_e32 v5, v5                                       // 00000000E344: 7E0A4105
	v_exp_f32_e32 v6, v6                                       // 00000000E348: 7E0C4106
	v_exp_f32_e32 v7, v7                                       // 00000000E34C: 7E0E4107
	v_add_f32_e64 v4, v4, 1.0                                  // 00000000E350: D1010004 0001E504
	v_add_f32_e64 v5, v5, 1.0                                  // 00000000E358: D1010005 0001E505
	v_add_f32_e64 v6, v6, 1.0                                  // 00000000E360: D1010006 0001E506
	v_add_f32_e64 v7, v7, 1.0                                  // 00000000E368: D1010007 0001E507
	v_rcp_f32_e32 v4, v4                                       // 00000000E370: 7E084504
	v_rcp_f32_e32 v5, v5                                       // 00000000E374: 7E0A4505
	v_rcp_f32_e32 v6, v6                                       // 00000000E378: 7E0C4506
	v_rcp_f32_e32 v7, v7                                       // 00000000E37C: 7E0E4507
	v_mul_f32_e32 v116, v116, v4                               // 00000000E380: 0AE80974
	v_mul_f32_e32 v117, v117, v5                               // 00000000E384: 0AEA0B75
	v_mul_f32_e32 v118, v118, v6                               // 00000000E388: 0AEC0D76
	v_mul_f32_e32 v119, v119, v7                               // 00000000E38C: 0AEE0F77
	v_mul_f32_e32 v116, v116, v196                             // 00000000E390: 0AE98974
	v_mul_f32_e32 v117, v117, v197                             // 00000000E394: 0AEB8B75
	v_mul_f32_e32 v118, v118, v198                             // 00000000E398: 0AED8D76
	v_mul_f32_e32 v119, v119, v199                             // 00000000E39C: 0AEF8F77
	v_pk_mul_f32 v[4:5], v[120:121], v[120:121]                // 00000000E3A0: D3B14004 1802F178
	v_pk_mul_f32 v[6:7], v[122:123], v[122:123]                // 00000000E3A8: D3B14006 1802F57A
	v_pk_fma_f32 v[4:5], v[4:5], s[78:79], v[8:9]              // 00000000E3B0: D3B04004 1C209D04
	v_pk_fma_f32 v[6:7], v[6:7], s[78:79], v[8:9]              // 00000000E3B8: D3B04006 1C209D06
	v_pk_mul_f32 v[4:5], v[4:5], v[120:121]                    // 00000000E3C0: D3B14004 1802F104
	v_pk_mul_f32 v[6:7], v[6:7], v[122:123]                    // 00000000E3C8: D3B14006 1802F506
	v_pk_mul_f32 v[4:5], v[4:5], s[60:61]                      // 00000000E3D0: D3B14004 18007904
	v_pk_mul_f32 v[6:7], v[6:7], s[60:61]                      // 00000000E3D8: D3B14006 18007906
	v_exp_f32_e32 v4, v4                                       // 00000000E3E0: 7E084104
	v_exp_f32_e32 v5, v5                                       // 00000000E3E4: 7E0A4105
	v_exp_f32_e32 v6, v6                                       // 00000000E3E8: 7E0C4106
	v_exp_f32_e32 v7, v7                                       // 00000000E3EC: 7E0E4107
	v_add_f32_e64 v4, v4, 1.0                                  // 00000000E3F0: D1010004 0001E504
	v_add_f32_e64 v5, v5, 1.0                                  // 00000000E3F8: D1010005 0001E505
	v_add_f32_e64 v6, v6, 1.0                                  // 00000000E400: D1010006 0001E506
	v_add_f32_e64 v7, v7, 1.0                                  // 00000000E408: D1010007 0001E507
	v_rcp_f32_e32 v4, v4                                       // 00000000E410: 7E084504
	v_rcp_f32_e32 v5, v5                                       // 00000000E414: 7E0A4505
	v_rcp_f32_e32 v6, v6                                       // 00000000E418: 7E0C4506
	v_rcp_f32_e32 v7, v7                                       // 00000000E41C: 7E0E4507
	v_mul_f32_e32 v120, v120, v4                               // 00000000E420: 0AF00978
	v_mul_f32_e32 v121, v121, v5                               // 00000000E424: 0AF20B79
	v_mul_f32_e32 v122, v122, v6                               // 00000000E428: 0AF40D7A
	v_mul_f32_e32 v123, v123, v7                               // 00000000E42C: 0AF60F7B
	v_mul_f32_e32 v120, v120, v200                             // 00000000E430: 0AF19178
	v_mul_f32_e32 v121, v121, v201                             // 00000000E434: 0AF39379
	v_mul_f32_e32 v122, v122, v202                             // 00000000E438: 0AF5957A
	v_mul_f32_e32 v123, v123, v203                             // 00000000E43C: 0AF7977B
	v_pk_mul_f32 v[4:5], v[124:125], v[124:125]                // 00000000E440: D3B14004 1802F97C
	v_pk_mul_f32 v[6:7], v[126:127], v[126:127]                // 00000000E448: D3B14006 1802FD7E
	v_pk_fma_f32 v[4:5], v[4:5], s[78:79], v[8:9]              // 00000000E450: D3B04004 1C209D04
	v_pk_fma_f32 v[6:7], v[6:7], s[78:79], v[8:9]              // 00000000E458: D3B04006 1C209D06
	v_pk_mul_f32 v[4:5], v[4:5], v[124:125]                    // 00000000E460: D3B14004 1802F904
	v_pk_mul_f32 v[6:7], v[6:7], v[126:127]                    // 00000000E468: D3B14006 1802FD06
	v_pk_mul_f32 v[4:5], v[4:5], s[60:61]                      // 00000000E470: D3B14004 18007904
	v_pk_mul_f32 v[6:7], v[6:7], s[60:61]                      // 00000000E478: D3B14006 18007906
	v_exp_f32_e32 v4, v4                                       // 00000000E480: 7E084104
	v_exp_f32_e32 v5, v5                                       // 00000000E484: 7E0A4105
	v_exp_f32_e32 v6, v6                                       // 00000000E488: 7E0C4106
	v_exp_f32_e32 v7, v7                                       // 00000000E48C: 7E0E4107
	v_add_f32_e64 v4, v4, 1.0                                  // 00000000E490: D1010004 0001E504
	v_add_f32_e64 v5, v5, 1.0                                  // 00000000E498: D1010005 0001E505
	v_add_f32_e64 v6, v6, 1.0                                  // 00000000E4A0: D1010006 0001E506
	v_add_f32_e64 v7, v7, 1.0                                  // 00000000E4A8: D1010007 0001E507
	v_rcp_f32_e32 v4, v4                                       // 00000000E4B0: 7E084504
	v_rcp_f32_e32 v5, v5                                       // 00000000E4B4: 7E0A4505
	v_rcp_f32_e32 v6, v6                                       // 00000000E4B8: 7E0C4506
	v_rcp_f32_e32 v7, v7                                       // 00000000E4BC: 7E0E4507
	v_mul_f32_e32 v124, v124, v4                               // 00000000E4C0: 0AF8097C
	v_mul_f32_e32 v125, v125, v5                               // 00000000E4C4: 0AFA0B7D
	v_mul_f32_e32 v126, v126, v6                               // 00000000E4C8: 0AFC0D7E
	v_mul_f32_e32 v127, v127, v7                               // 00000000E4CC: 0AFE0F7F
	v_mul_f32_e32 v124, v124, v204                             // 00000000E4D0: 0AF9997C
	v_mul_f32_e32 v125, v125, v205                             // 00000000E4D4: 0AFB9B7D
	v_mul_f32_e32 v126, v126, v206                             // 00000000E4D8: 0AFD9D7E
	v_mul_f32_e32 v127, v127, v207                             // 00000000E4DC: 0AFF9F7F
	v_pk_mul_f32 v[4:5], v[128:129], v[128:129]                // 00000000E4E0: D3B14004 18030180
	v_pk_mul_f32 v[6:7], v[130:131], v[130:131]                // 00000000E4E8: D3B14006 18030582
	v_pk_fma_f32 v[4:5], v[4:5], s[78:79], v[8:9]              // 00000000E4F0: D3B04004 1C209D04
	v_pk_fma_f32 v[6:7], v[6:7], s[78:79], v[8:9]              // 00000000E4F8: D3B04006 1C209D06
	v_pk_mul_f32 v[4:5], v[4:5], v[128:129]                    // 00000000E500: D3B14004 18030104
	v_pk_mul_f32 v[6:7], v[6:7], v[130:131]                    // 00000000E508: D3B14006 18030506
	v_pk_mul_f32 v[4:5], v[4:5], s[60:61]                      // 00000000E510: D3B14004 18007904
	v_pk_mul_f32 v[6:7], v[6:7], s[60:61]                      // 00000000E518: D3B14006 18007906
	v_exp_f32_e32 v4, v4                                       // 00000000E520: 7E084104
	v_exp_f32_e32 v5, v5                                       // 00000000E524: 7E0A4105
	v_exp_f32_e32 v6, v6                                       // 00000000E528: 7E0C4106
	v_exp_f32_e32 v7, v7                                       // 00000000E52C: 7E0E4107
	v_add_f32_e64 v4, v4, 1.0                                  // 00000000E530: D1010004 0001E504
	v_add_f32_e64 v5, v5, 1.0                                  // 00000000E538: D1010005 0001E505
	v_add_f32_e64 v6, v6, 1.0                                  // 00000000E540: D1010006 0001E506
	v_add_f32_e64 v7, v7, 1.0                                  // 00000000E548: D1010007 0001E507
	v_rcp_f32_e32 v4, v4                                       // 00000000E550: 7E084504
	v_rcp_f32_e32 v5, v5                                       // 00000000E554: 7E0A4505
	v_rcp_f32_e32 v6, v6                                       // 00000000E558: 7E0C4506
	v_rcp_f32_e32 v7, v7                                       // 00000000E55C: 7E0E4507
	v_mul_f32_e32 v128, v128, v4                               // 00000000E560: 0B000980
	v_mul_f32_e32 v129, v129, v5                               // 00000000E564: 0B020B81
	v_mul_f32_e32 v130, v130, v6                               // 00000000E568: 0B040D82
	v_mul_f32_e32 v131, v131, v7                               // 00000000E56C: 0B060F83
	v_mul_f32_e32 v128, v128, v208                             // 00000000E570: 0B01A180
	v_mul_f32_e32 v129, v129, v209                             // 00000000E574: 0B03A381
	v_mul_f32_e32 v130, v130, v210                             // 00000000E578: 0B05A582
	v_mul_f32_e32 v131, v131, v211                             // 00000000E57C: 0B07A783
	v_pk_mul_f32 v[4:5], v[132:133], v[132:133]                // 00000000E580: D3B14004 18030984
	v_pk_mul_f32 v[6:7], v[134:135], v[134:135]                // 00000000E588: D3B14006 18030D86
	v_pk_fma_f32 v[4:5], v[4:5], s[78:79], v[8:9]              // 00000000E590: D3B04004 1C209D04
	v_pk_fma_f32 v[6:7], v[6:7], s[78:79], v[8:9]              // 00000000E598: D3B04006 1C209D06
	v_pk_mul_f32 v[4:5], v[4:5], v[132:133]                    // 00000000E5A0: D3B14004 18030904
	v_pk_mul_f32 v[6:7], v[6:7], v[134:135]                    // 00000000E5A8: D3B14006 18030D06
	v_pk_mul_f32 v[4:5], v[4:5], s[60:61]                      // 00000000E5B0: D3B14004 18007904
	v_pk_mul_f32 v[6:7], v[6:7], s[60:61]                      // 00000000E5B8: D3B14006 18007906
	v_exp_f32_e32 v4, v4                                       // 00000000E5C0: 7E084104
	v_exp_f32_e32 v5, v5                                       // 00000000E5C4: 7E0A4105
	v_exp_f32_e32 v6, v6                                       // 00000000E5C8: 7E0C4106
	v_exp_f32_e32 v7, v7                                       // 00000000E5CC: 7E0E4107
	v_add_f32_e64 v4, v4, 1.0                                  // 00000000E5D0: D1010004 0001E504
	v_add_f32_e64 v5, v5, 1.0                                  // 00000000E5D8: D1010005 0001E505
	v_add_f32_e64 v6, v6, 1.0                                  // 00000000E5E0: D1010006 0001E506
	v_add_f32_e64 v7, v7, 1.0                                  // 00000000E5E8: D1010007 0001E507
	v_rcp_f32_e32 v4, v4                                       // 00000000E5F0: 7E084504
	v_rcp_f32_e32 v5, v5                                       // 00000000E5F4: 7E0A4505
	v_rcp_f32_e32 v6, v6                                       // 00000000E5F8: 7E0C4506
	v_rcp_f32_e32 v7, v7                                       // 00000000E5FC: 7E0E4507
	v_mul_f32_e32 v132, v132, v4                               // 00000000E600: 0B080984
	v_mul_f32_e32 v133, v133, v5                               // 00000000E604: 0B0A0B85
	v_mul_f32_e32 v134, v134, v6                               // 00000000E608: 0B0C0D86
	v_mul_f32_e32 v135, v135, v7                               // 00000000E60C: 0B0E0F87
	v_mul_f32_e32 v132, v132, v212                             // 00000000E610: 0B09A984
	v_mul_f32_e32 v133, v133, v213                             // 00000000E614: 0B0BAB85
	v_mul_f32_e32 v134, v134, v214                             // 00000000E618: 0B0DAD86
	v_mul_f32_e32 v135, v135, v215                             // 00000000E61C: 0B0FAF87
	v_pk_mul_f32 v[4:5], v[136:137], v[136:137]                // 00000000E620: D3B14004 18031188
	v_pk_mul_f32 v[6:7], v[138:139], v[138:139]                // 00000000E628: D3B14006 1803158A
	v_pk_fma_f32 v[4:5], v[4:5], s[78:79], v[8:9]              // 00000000E630: D3B04004 1C209D04
	v_pk_fma_f32 v[6:7], v[6:7], s[78:79], v[8:9]              // 00000000E638: D3B04006 1C209D06
	v_pk_mul_f32 v[4:5], v[4:5], v[136:137]                    // 00000000E640: D3B14004 18031104
	v_pk_mul_f32 v[6:7], v[6:7], v[138:139]                    // 00000000E648: D3B14006 18031506
	v_pk_mul_f32 v[4:5], v[4:5], s[60:61]                      // 00000000E650: D3B14004 18007904
	v_pk_mul_f32 v[6:7], v[6:7], s[60:61]                      // 00000000E658: D3B14006 18007906
	v_exp_f32_e32 v4, v4                                       // 00000000E660: 7E084104
	v_exp_f32_e32 v5, v5                                       // 00000000E664: 7E0A4105
	v_exp_f32_e32 v6, v6                                       // 00000000E668: 7E0C4106
	v_exp_f32_e32 v7, v7                                       // 00000000E66C: 7E0E4107
	v_add_f32_e64 v4, v4, 1.0                                  // 00000000E670: D1010004 0001E504
	v_add_f32_e64 v5, v5, 1.0                                  // 00000000E678: D1010005 0001E505
	v_add_f32_e64 v6, v6, 1.0                                  // 00000000E680: D1010006 0001E506
	v_add_f32_e64 v7, v7, 1.0                                  // 00000000E688: D1010007 0001E507
	v_rcp_f32_e32 v4, v4                                       // 00000000E690: 7E084504
	v_rcp_f32_e32 v5, v5                                       // 00000000E694: 7E0A4505
	v_rcp_f32_e32 v6, v6                                       // 00000000E698: 7E0C4506
	v_rcp_f32_e32 v7, v7                                       // 00000000E69C: 7E0E4507
	v_mul_f32_e32 v136, v136, v4                               // 00000000E6A0: 0B100988
	v_mul_f32_e32 v137, v137, v5                               // 00000000E6A4: 0B120B89
	v_mul_f32_e32 v138, v138, v6                               // 00000000E6A8: 0B140D8A
	v_mul_f32_e32 v139, v139, v7                               // 00000000E6AC: 0B160F8B
	v_mul_f32_e32 v136, v136, v216                             // 00000000E6B0: 0B11B188
	v_mul_f32_e32 v137, v137, v217                             // 00000000E6B4: 0B13B389
	v_mul_f32_e32 v138, v138, v218                             // 00000000E6B8: 0B15B58A
	v_mul_f32_e32 v139, v139, v219                             // 00000000E6BC: 0B17B78B
	v_pk_mul_f32 v[4:5], v[140:141], v[140:141]                // 00000000E6C0: D3B14004 1803198C
	v_pk_mul_f32 v[6:7], v[142:143], v[142:143]                // 00000000E6C8: D3B14006 18031D8E
	v_pk_fma_f32 v[4:5], v[4:5], s[78:79], v[8:9]              // 00000000E6D0: D3B04004 1C209D04
	v_pk_fma_f32 v[6:7], v[6:7], s[78:79], v[8:9]              // 00000000E6D8: D3B04006 1C209D06
	v_pk_mul_f32 v[4:5], v[4:5], v[140:141]                    // 00000000E6E0: D3B14004 18031904
	v_pk_mul_f32 v[6:7], v[6:7], v[142:143]                    // 00000000E6E8: D3B14006 18031D06
	v_pk_mul_f32 v[4:5], v[4:5], s[60:61]                      // 00000000E6F0: D3B14004 18007904
	v_pk_mul_f32 v[6:7], v[6:7], s[60:61]                      // 00000000E6F8: D3B14006 18007906
	v_exp_f32_e32 v4, v4                                       // 00000000E700: 7E084104
	v_exp_f32_e32 v5, v5                                       // 00000000E704: 7E0A4105
	v_exp_f32_e32 v6, v6                                       // 00000000E708: 7E0C4106
	v_exp_f32_e32 v7, v7                                       // 00000000E70C: 7E0E4107
	v_add_f32_e64 v4, v4, 1.0                                  // 00000000E710: D1010004 0001E504
	v_add_f32_e64 v5, v5, 1.0                                  // 00000000E718: D1010005 0001E505
	v_add_f32_e64 v6, v6, 1.0                                  // 00000000E720: D1010006 0001E506
	v_add_f32_e64 v7, v7, 1.0                                  // 00000000E728: D1010007 0001E507
	v_rcp_f32_e32 v4, v4                                       // 00000000E730: 7E084504
	v_rcp_f32_e32 v5, v5                                       // 00000000E734: 7E0A4505
	v_rcp_f32_e32 v6, v6                                       // 00000000E738: 7E0C4506
	v_rcp_f32_e32 v7, v7                                       // 00000000E73C: 7E0E4507
	v_mul_f32_e32 v140, v140, v4                               // 00000000E740: 0B18098C
	v_mul_f32_e32 v141, v141, v5                               // 00000000E744: 0B1A0B8D
	v_mul_f32_e32 v142, v142, v6                               // 00000000E748: 0B1C0D8E
	v_mul_f32_e32 v143, v143, v7                               // 00000000E74C: 0B1E0F8F
	v_mul_f32_e32 v140, v140, v220                             // 00000000E750: 0B19B98C
	v_mul_f32_e32 v141, v141, v221                             // 00000000E754: 0B1BBB8D
	v_mul_f32_e32 v142, v142, v222                             // 00000000E758: 0B1DBD8E
	v_mul_f32_e32 v143, v143, v223                             // 00000000E75C: 0B1FBF8F
	s_branch label_31DC                                        // 00000000E760: BF820280

000000000000e764 <label_2F5C>:
	v_mul_f32_e64 v4, -v64, s6                                 // 00000000E764: D1050004 20000D40
	v_mul_f32_e64 v5, -v65, s6                                 // 00000000E76C: D1050005 20000D41
	v_mul_f32_e64 v6, -v66, s6                                 // 00000000E774: D1050006 20000D42
	v_mul_f32_e64 v7, -v67, s6                                 // 00000000E77C: D1050007 20000D43
	v_exp_f32_e32 v4, v4                                       // 00000000E784: 7E084104
	v_exp_f32_e32 v5, v5                                       // 00000000E788: 7E0A4105
	v_exp_f32_e32 v6, v6                                       // 00000000E78C: 7E0C4106
	v_exp_f32_e32 v7, v7                                       // 00000000E790: 7E0E4107
	v_add_f32_e64 v4, v4, 1.0                                  // 00000000E794: D1010004 0001E504
	v_add_f32_e64 v5, v5, 1.0                                  // 00000000E79C: D1010005 0001E505
	v_add_f32_e64 v6, v6, 1.0                                  // 00000000E7A4: D1010006 0001E506
	v_add_f32_e64 v7, v7, 1.0                                  // 00000000E7AC: D1010007 0001E507
	v_rcp_f32_e32 v4, v4                                       // 00000000E7B4: 7E084504
	v_rcp_f32_e32 v5, v5                                       // 00000000E7B8: 7E0A4505
	v_rcp_f32_e32 v6, v6                                       // 00000000E7BC: 7E0C4506
	v_rcp_f32_e32 v7, v7                                       // 00000000E7C0: 7E0E4507
	v_mul_f32_e32 v64, v64, v4                                 // 00000000E7C4: 0A800940
	v_mul_f32_e32 v65, v65, v5                                 // 00000000E7C8: 0A820B41
	v_mul_f32_e32 v66, v66, v6                                 // 00000000E7CC: 0A840D42
	v_mul_f32_e32 v67, v67, v7                                 // 00000000E7D0: 0A860F43
	v_mul_f32_e32 v64, v64, v144                               // 00000000E7D4: 0A812140
	v_mul_f32_e32 v65, v65, v145                               // 00000000E7D8: 0A832341
	v_mul_f32_e32 v66, v66, v146                               // 00000000E7DC: 0A852542
	v_mul_f32_e32 v67, v67, v147                               // 00000000E7E0: 0A872743
	v_mul_f32_e64 v4, -v68, s6                                 // 00000000E7E4: D1050004 20000D44
	v_mul_f32_e64 v5, -v69, s6                                 // 00000000E7EC: D1050005 20000D45
	v_mul_f32_e64 v6, -v70, s6                                 // 00000000E7F4: D1050006 20000D46
	v_mul_f32_e64 v7, -v71, s6                                 // 00000000E7FC: D1050007 20000D47
	v_exp_f32_e32 v4, v4                                       // 00000000E804: 7E084104
	v_exp_f32_e32 v5, v5                                       // 00000000E808: 7E0A4105
	v_exp_f32_e32 v6, v6                                       // 00000000E80C: 7E0C4106
	v_exp_f32_e32 v7, v7                                       // 00000000E810: 7E0E4107
	v_add_f32_e64 v4, v4, 1.0                                  // 00000000E814: D1010004 0001E504
	v_add_f32_e64 v5, v5, 1.0                                  // 00000000E81C: D1010005 0001E505
	v_add_f32_e64 v6, v6, 1.0                                  // 00000000E824: D1010006 0001E506
	v_add_f32_e64 v7, v7, 1.0                                  // 00000000E82C: D1010007 0001E507
	v_rcp_f32_e32 v4, v4                                       // 00000000E834: 7E084504
	v_rcp_f32_e32 v5, v5                                       // 00000000E838: 7E0A4505
	v_rcp_f32_e32 v6, v6                                       // 00000000E83C: 7E0C4506
	v_rcp_f32_e32 v7, v7                                       // 00000000E840: 7E0E4507
	v_mul_f32_e32 v68, v68, v4                                 // 00000000E844: 0A880944
	v_mul_f32_e32 v69, v69, v5                                 // 00000000E848: 0A8A0B45
	v_mul_f32_e32 v70, v70, v6                                 // 00000000E84C: 0A8C0D46
	v_mul_f32_e32 v71, v71, v7                                 // 00000000E850: 0A8E0F47
	v_mul_f32_e32 v68, v68, v148                               // 00000000E854: 0A892944
	v_mul_f32_e32 v69, v69, v149                               // 00000000E858: 0A8B2B45
	v_mul_f32_e32 v70, v70, v150                               // 00000000E85C: 0A8D2D46
	v_mul_f32_e32 v71, v71, v151                               // 00000000E860: 0A8F2F47
	v_mul_f32_e64 v4, -v72, s6                                 // 00000000E864: D1050004 20000D48
	v_mul_f32_e64 v5, -v73, s6                                 // 00000000E86C: D1050005 20000D49
	v_mul_f32_e64 v6, -v74, s6                                 // 00000000E874: D1050006 20000D4A
	v_mul_f32_e64 v7, -v75, s6                                 // 00000000E87C: D1050007 20000D4B
	v_exp_f32_e32 v4, v4                                       // 00000000E884: 7E084104
	v_exp_f32_e32 v5, v5                                       // 00000000E888: 7E0A4105
	v_exp_f32_e32 v6, v6                                       // 00000000E88C: 7E0C4106
	v_exp_f32_e32 v7, v7                                       // 00000000E890: 7E0E4107
	v_add_f32_e64 v4, v4, 1.0                                  // 00000000E894: D1010004 0001E504
	v_add_f32_e64 v5, v5, 1.0                                  // 00000000E89C: D1010005 0001E505
	v_add_f32_e64 v6, v6, 1.0                                  // 00000000E8A4: D1010006 0001E506
	v_add_f32_e64 v7, v7, 1.0                                  // 00000000E8AC: D1010007 0001E507
	v_rcp_f32_e32 v4, v4                                       // 00000000E8B4: 7E084504
	v_rcp_f32_e32 v5, v5                                       // 00000000E8B8: 7E0A4505
	v_rcp_f32_e32 v6, v6                                       // 00000000E8BC: 7E0C4506
	v_rcp_f32_e32 v7, v7                                       // 00000000E8C0: 7E0E4507
	v_mul_f32_e32 v72, v72, v4                                 // 00000000E8C4: 0A900948
	v_mul_f32_e32 v73, v73, v5                                 // 00000000E8C8: 0A920B49
	v_mul_f32_e32 v74, v74, v6                                 // 00000000E8CC: 0A940D4A
	v_mul_f32_e32 v75, v75, v7                                 // 00000000E8D0: 0A960F4B
	v_mul_f32_e32 v72, v72, v152                               // 00000000E8D4: 0A913148
	v_mul_f32_e32 v73, v73, v153                               // 00000000E8D8: 0A933349
	v_mul_f32_e32 v74, v74, v154                               // 00000000E8DC: 0A95354A
	v_mul_f32_e32 v75, v75, v155                               // 00000000E8E0: 0A97374B
	v_mul_f32_e64 v4, -v76, s6                                 // 00000000E8E4: D1050004 20000D4C
	v_mul_f32_e64 v5, -v77, s6                                 // 00000000E8EC: D1050005 20000D4D
	v_mul_f32_e64 v6, -v78, s6                                 // 00000000E8F4: D1050006 20000D4E
	v_mul_f32_e64 v7, -v79, s6                                 // 00000000E8FC: D1050007 20000D4F
	v_exp_f32_e32 v4, v4                                       // 00000000E904: 7E084104
	v_exp_f32_e32 v5, v5                                       // 00000000E908: 7E0A4105
	v_exp_f32_e32 v6, v6                                       // 00000000E90C: 7E0C4106
	v_exp_f32_e32 v7, v7                                       // 00000000E910: 7E0E4107
	v_add_f32_e64 v4, v4, 1.0                                  // 00000000E914: D1010004 0001E504
	v_add_f32_e64 v5, v5, 1.0                                  // 00000000E91C: D1010005 0001E505
	v_add_f32_e64 v6, v6, 1.0                                  // 00000000E924: D1010006 0001E506
	v_add_f32_e64 v7, v7, 1.0                                  // 00000000E92C: D1010007 0001E507
	v_rcp_f32_e32 v4, v4                                       // 00000000E934: 7E084504
	v_rcp_f32_e32 v5, v5                                       // 00000000E938: 7E0A4505
	v_rcp_f32_e32 v6, v6                                       // 00000000E93C: 7E0C4506
	v_rcp_f32_e32 v7, v7                                       // 00000000E940: 7E0E4507
	v_mul_f32_e32 v76, v76, v4                                 // 00000000E944: 0A98094C
	v_mul_f32_e32 v77, v77, v5                                 // 00000000E948: 0A9A0B4D
	v_mul_f32_e32 v78, v78, v6                                 // 00000000E94C: 0A9C0D4E
	v_mul_f32_e32 v79, v79, v7                                 // 00000000E950: 0A9E0F4F
	v_mul_f32_e32 v76, v76, v156                               // 00000000E954: 0A99394C
	v_mul_f32_e32 v77, v77, v157                               // 00000000E958: 0A9B3B4D
	v_mul_f32_e32 v78, v78, v158                               // 00000000E95C: 0A9D3D4E
	v_mul_f32_e32 v79, v79, v159                               // 00000000E960: 0A9F3F4F
	v_mul_f32_e64 v4, -v80, s6                                 // 00000000E964: D1050004 20000D50
	v_mul_f32_e64 v5, -v81, s6                                 // 00000000E96C: D1050005 20000D51
	v_mul_f32_e64 v6, -v82, s6                                 // 00000000E974: D1050006 20000D52
	v_mul_f32_e64 v7, -v83, s6                                 // 00000000E97C: D1050007 20000D53
	v_exp_f32_e32 v4, v4                                       // 00000000E984: 7E084104
	v_exp_f32_e32 v5, v5                                       // 00000000E988: 7E0A4105
	v_exp_f32_e32 v6, v6                                       // 00000000E98C: 7E0C4106
	v_exp_f32_e32 v7, v7                                       // 00000000E990: 7E0E4107
	v_add_f32_e64 v4, v4, 1.0                                  // 00000000E994: D1010004 0001E504
	v_add_f32_e64 v5, v5, 1.0                                  // 00000000E99C: D1010005 0001E505
	v_add_f32_e64 v6, v6, 1.0                                  // 00000000E9A4: D1010006 0001E506
	v_add_f32_e64 v7, v7, 1.0                                  // 00000000E9AC: D1010007 0001E507
	v_rcp_f32_e32 v4, v4                                       // 00000000E9B4: 7E084504
	v_rcp_f32_e32 v5, v5                                       // 00000000E9B8: 7E0A4505
	v_rcp_f32_e32 v6, v6                                       // 00000000E9BC: 7E0C4506
	v_rcp_f32_e32 v7, v7                                       // 00000000E9C0: 7E0E4507
	v_mul_f32_e32 v80, v80, v4                                 // 00000000E9C4: 0AA00950
	v_mul_f32_e32 v81, v81, v5                                 // 00000000E9C8: 0AA20B51
	v_mul_f32_e32 v82, v82, v6                                 // 00000000E9CC: 0AA40D52
	v_mul_f32_e32 v83, v83, v7                                 // 00000000E9D0: 0AA60F53
	v_mul_f32_e32 v80, v80, v160                               // 00000000E9D4: 0AA14150
	v_mul_f32_e32 v81, v81, v161                               // 00000000E9D8: 0AA34351
	v_mul_f32_e32 v82, v82, v162                               // 00000000E9DC: 0AA54552
	v_mul_f32_e32 v83, v83, v163                               // 00000000E9E0: 0AA74753
	v_mul_f32_e64 v4, -v84, s6                                 // 00000000E9E4: D1050004 20000D54
	v_mul_f32_e64 v5, -v85, s6                                 // 00000000E9EC: D1050005 20000D55
	v_mul_f32_e64 v6, -v86, s6                                 // 00000000E9F4: D1050006 20000D56
	v_mul_f32_e64 v7, -v87, s6                                 // 00000000E9FC: D1050007 20000D57
	v_exp_f32_e32 v4, v4                                       // 00000000EA04: 7E084104
	v_exp_f32_e32 v5, v5                                       // 00000000EA08: 7E0A4105
	v_exp_f32_e32 v6, v6                                       // 00000000EA0C: 7E0C4106
	v_exp_f32_e32 v7, v7                                       // 00000000EA10: 7E0E4107
	v_add_f32_e64 v4, v4, 1.0                                  // 00000000EA14: D1010004 0001E504
	v_add_f32_e64 v5, v5, 1.0                                  // 00000000EA1C: D1010005 0001E505
	v_add_f32_e64 v6, v6, 1.0                                  // 00000000EA24: D1010006 0001E506
	v_add_f32_e64 v7, v7, 1.0                                  // 00000000EA2C: D1010007 0001E507
	v_rcp_f32_e32 v4, v4                                       // 00000000EA34: 7E084504
	v_rcp_f32_e32 v5, v5                                       // 00000000EA38: 7E0A4505
	v_rcp_f32_e32 v6, v6                                       // 00000000EA3C: 7E0C4506
	v_rcp_f32_e32 v7, v7                                       // 00000000EA40: 7E0E4507
	v_mul_f32_e32 v84, v84, v4                                 // 00000000EA44: 0AA80954
	v_mul_f32_e32 v85, v85, v5                                 // 00000000EA48: 0AAA0B55
	v_mul_f32_e32 v86, v86, v6                                 // 00000000EA4C: 0AAC0D56
	v_mul_f32_e32 v87, v87, v7                                 // 00000000EA50: 0AAE0F57
	v_mul_f32_e32 v84, v84, v164                               // 00000000EA54: 0AA94954
	v_mul_f32_e32 v85, v85, v165                               // 00000000EA58: 0AAB4B55
	v_mul_f32_e32 v86, v86, v166                               // 00000000EA5C: 0AAD4D56
	v_mul_f32_e32 v87, v87, v167                               // 00000000EA60: 0AAF4F57
	v_mul_f32_e64 v4, -v88, s6                                 // 00000000EA64: D1050004 20000D58
	v_mul_f32_e64 v5, -v89, s6                                 // 00000000EA6C: D1050005 20000D59
	v_mul_f32_e64 v6, -v90, s6                                 // 00000000EA74: D1050006 20000D5A
	v_mul_f32_e64 v7, -v91, s6                                 // 00000000EA7C: D1050007 20000D5B
	v_exp_f32_e32 v4, v4                                       // 00000000EA84: 7E084104
	v_exp_f32_e32 v5, v5                                       // 00000000EA88: 7E0A4105
	v_exp_f32_e32 v6, v6                                       // 00000000EA8C: 7E0C4106
	v_exp_f32_e32 v7, v7                                       // 00000000EA90: 7E0E4107
	v_add_f32_e64 v4, v4, 1.0                                  // 00000000EA94: D1010004 0001E504
	v_add_f32_e64 v5, v5, 1.0                                  // 00000000EA9C: D1010005 0001E505
	v_add_f32_e64 v6, v6, 1.0                                  // 00000000EAA4: D1010006 0001E506
	v_add_f32_e64 v7, v7, 1.0                                  // 00000000EAAC: D1010007 0001E507
	v_rcp_f32_e32 v4, v4                                       // 00000000EAB4: 7E084504
	v_rcp_f32_e32 v5, v5                                       // 00000000EAB8: 7E0A4505
	v_rcp_f32_e32 v6, v6                                       // 00000000EABC: 7E0C4506
	v_rcp_f32_e32 v7, v7                                       // 00000000EAC0: 7E0E4507
	v_mul_f32_e32 v88, v88, v4                                 // 00000000EAC4: 0AB00958
	v_mul_f32_e32 v89, v89, v5                                 // 00000000EAC8: 0AB20B59
	v_mul_f32_e32 v90, v90, v6                                 // 00000000EACC: 0AB40D5A
	v_mul_f32_e32 v91, v91, v7                                 // 00000000EAD0: 0AB60F5B
	v_mul_f32_e32 v88, v88, v168                               // 00000000EAD4: 0AB15158
	v_mul_f32_e32 v89, v89, v169                               // 00000000EAD8: 0AB35359
	v_mul_f32_e32 v90, v90, v170                               // 00000000EADC: 0AB5555A
	v_mul_f32_e32 v91, v91, v171                               // 00000000EAE0: 0AB7575B
	v_mul_f32_e64 v4, -v92, s6                                 // 00000000EAE4: D1050004 20000D5C
	v_mul_f32_e64 v5, -v93, s6                                 // 00000000EAEC: D1050005 20000D5D
	v_mul_f32_e64 v6, -v94, s6                                 // 00000000EAF4: D1050006 20000D5E
	v_mul_f32_e64 v7, -v95, s6                                 // 00000000EAFC: D1050007 20000D5F
	v_exp_f32_e32 v4, v4                                       // 00000000EB04: 7E084104
	v_exp_f32_e32 v5, v5                                       // 00000000EB08: 7E0A4105
	v_exp_f32_e32 v6, v6                                       // 00000000EB0C: 7E0C4106
	v_exp_f32_e32 v7, v7                                       // 00000000EB10: 7E0E4107
	v_add_f32_e64 v4, v4, 1.0                                  // 00000000EB14: D1010004 0001E504
	v_add_f32_e64 v5, v5, 1.0                                  // 00000000EB1C: D1010005 0001E505
	v_add_f32_e64 v6, v6, 1.0                                  // 00000000EB24: D1010006 0001E506
	v_add_f32_e64 v7, v7, 1.0                                  // 00000000EB2C: D1010007 0001E507
	v_rcp_f32_e32 v4, v4                                       // 00000000EB34: 7E084504
	v_rcp_f32_e32 v5, v5                                       // 00000000EB38: 7E0A4505
	v_rcp_f32_e32 v6, v6                                       // 00000000EB3C: 7E0C4506
	v_rcp_f32_e32 v7, v7                                       // 00000000EB40: 7E0E4507
	v_mul_f32_e32 v92, v92, v4                                 // 00000000EB44: 0AB8095C
	v_mul_f32_e32 v93, v93, v5                                 // 00000000EB48: 0ABA0B5D
	v_mul_f32_e32 v94, v94, v6                                 // 00000000EB4C: 0ABC0D5E
	v_mul_f32_e32 v95, v95, v7                                 // 00000000EB50: 0ABE0F5F
	v_mul_f32_e32 v92, v92, v172                               // 00000000EB54: 0AB9595C
	v_mul_f32_e32 v93, v93, v173                               // 00000000EB58: 0ABB5B5D
	v_mul_f32_e32 v94, v94, v174                               // 00000000EB5C: 0ABD5D5E
	v_mul_f32_e32 v95, v95, v175                               // 00000000EB60: 0ABF5F5F
	v_mul_f32_e64 v4, -v96, s6                                 // 00000000EB64: D1050004 20000D60
	v_mul_f32_e64 v5, -v97, s6                                 // 00000000EB6C: D1050005 20000D61
	v_mul_f32_e64 v6, -v98, s6                                 // 00000000EB74: D1050006 20000D62
	v_mul_f32_e64 v7, -v99, s6                                 // 00000000EB7C: D1050007 20000D63
	v_exp_f32_e32 v4, v4                                       // 00000000EB84: 7E084104
	v_exp_f32_e32 v5, v5                                       // 00000000EB88: 7E0A4105
	v_exp_f32_e32 v6, v6                                       // 00000000EB8C: 7E0C4106
	v_exp_f32_e32 v7, v7                                       // 00000000EB90: 7E0E4107
	v_add_f32_e64 v4, v4, 1.0                                  // 00000000EB94: D1010004 0001E504
	v_add_f32_e64 v5, v5, 1.0                                  // 00000000EB9C: D1010005 0001E505
	v_add_f32_e64 v6, v6, 1.0                                  // 00000000EBA4: D1010006 0001E506
	v_add_f32_e64 v7, v7, 1.0                                  // 00000000EBAC: D1010007 0001E507
	v_rcp_f32_e32 v4, v4                                       // 00000000EBB4: 7E084504
	v_rcp_f32_e32 v5, v5                                       // 00000000EBB8: 7E0A4505
	v_rcp_f32_e32 v6, v6                                       // 00000000EBBC: 7E0C4506
	v_rcp_f32_e32 v7, v7                                       // 00000000EBC0: 7E0E4507
	v_mul_f32_e32 v96, v96, v4                                 // 00000000EBC4: 0AC00960
	v_mul_f32_e32 v97, v97, v5                                 // 00000000EBC8: 0AC20B61
	v_mul_f32_e32 v98, v98, v6                                 // 00000000EBCC: 0AC40D62
	v_mul_f32_e32 v99, v99, v7                                 // 00000000EBD0: 0AC60F63
	v_mul_f32_e32 v96, v96, v176                               // 00000000EBD4: 0AC16160
	v_mul_f32_e32 v97, v97, v177                               // 00000000EBD8: 0AC36361
	v_mul_f32_e32 v98, v98, v178                               // 00000000EBDC: 0AC56562
	v_mul_f32_e32 v99, v99, v179                               // 00000000EBE0: 0AC76763
	v_mul_f32_e64 v4, -v100, s6                                // 00000000EBE4: D1050004 20000D64
	v_mul_f32_e64 v5, -v101, s6                                // 00000000EBEC: D1050005 20000D65
	v_mul_f32_e64 v6, -v102, s6                                // 00000000EBF4: D1050006 20000D66
	v_mul_f32_e64 v7, -v103, s6                                // 00000000EBFC: D1050007 20000D67
	v_exp_f32_e32 v4, v4                                       // 00000000EC04: 7E084104
	v_exp_f32_e32 v5, v5                                       // 00000000EC08: 7E0A4105
	v_exp_f32_e32 v6, v6                                       // 00000000EC0C: 7E0C4106
	v_exp_f32_e32 v7, v7                                       // 00000000EC10: 7E0E4107
	v_add_f32_e64 v4, v4, 1.0                                  // 00000000EC14: D1010004 0001E504
	v_add_f32_e64 v5, v5, 1.0                                  // 00000000EC1C: D1010005 0001E505
	v_add_f32_e64 v6, v6, 1.0                                  // 00000000EC24: D1010006 0001E506
	v_add_f32_e64 v7, v7, 1.0                                  // 00000000EC2C: D1010007 0001E507
	v_rcp_f32_e32 v4, v4                                       // 00000000EC34: 7E084504
	v_rcp_f32_e32 v5, v5                                       // 00000000EC38: 7E0A4505
	v_rcp_f32_e32 v6, v6                                       // 00000000EC3C: 7E0C4506
	v_rcp_f32_e32 v7, v7                                       // 00000000EC40: 7E0E4507
	v_mul_f32_e32 v100, v100, v4                               // 00000000EC44: 0AC80964
	v_mul_f32_e32 v101, v101, v5                               // 00000000EC48: 0ACA0B65
	v_mul_f32_e32 v102, v102, v6                               // 00000000EC4C: 0ACC0D66
	v_mul_f32_e32 v103, v103, v7                               // 00000000EC50: 0ACE0F67
	v_mul_f32_e32 v100, v100, v180                             // 00000000EC54: 0AC96964
	v_mul_f32_e32 v101, v101, v181                             // 00000000EC58: 0ACB6B65
	v_mul_f32_e32 v102, v102, v182                             // 00000000EC5C: 0ACD6D66
	v_mul_f32_e32 v103, v103, v183                             // 00000000EC60: 0ACF6F67
	v_mul_f32_e64 v4, -v104, s6                                // 00000000EC64: D1050004 20000D68
	v_mul_f32_e64 v5, -v105, s6                                // 00000000EC6C: D1050005 20000D69
	v_mul_f32_e64 v6, -v106, s6                                // 00000000EC74: D1050006 20000D6A
	v_mul_f32_e64 v7, -v107, s6                                // 00000000EC7C: D1050007 20000D6B
	v_exp_f32_e32 v4, v4                                       // 00000000EC84: 7E084104
	v_exp_f32_e32 v5, v5                                       // 00000000EC88: 7E0A4105
	v_exp_f32_e32 v6, v6                                       // 00000000EC8C: 7E0C4106
	v_exp_f32_e32 v7, v7                                       // 00000000EC90: 7E0E4107
	v_add_f32_e64 v4, v4, 1.0                                  // 00000000EC94: D1010004 0001E504
	v_add_f32_e64 v5, v5, 1.0                                  // 00000000EC9C: D1010005 0001E505
	v_add_f32_e64 v6, v6, 1.0                                  // 00000000ECA4: D1010006 0001E506
	v_add_f32_e64 v7, v7, 1.0                                  // 00000000ECAC: D1010007 0001E507
	v_rcp_f32_e32 v4, v4                                       // 00000000ECB4: 7E084504
	v_rcp_f32_e32 v5, v5                                       // 00000000ECB8: 7E0A4505
	v_rcp_f32_e32 v6, v6                                       // 00000000ECBC: 7E0C4506
	v_rcp_f32_e32 v7, v7                                       // 00000000ECC0: 7E0E4507
	v_mul_f32_e32 v104, v104, v4                               // 00000000ECC4: 0AD00968
	v_mul_f32_e32 v105, v105, v5                               // 00000000ECC8: 0AD20B69
	v_mul_f32_e32 v106, v106, v6                               // 00000000ECCC: 0AD40D6A
	v_mul_f32_e32 v107, v107, v7                               // 00000000ECD0: 0AD60F6B
	v_mul_f32_e32 v104, v104, v184                             // 00000000ECD4: 0AD17168
	v_mul_f32_e32 v105, v105, v185                             // 00000000ECD8: 0AD37369
	v_mul_f32_e32 v106, v106, v186                             // 00000000ECDC: 0AD5756A
	v_mul_f32_e32 v107, v107, v187                             // 00000000ECE0: 0AD7776B
	v_mul_f32_e64 v4, -v108, s6                                // 00000000ECE4: D1050004 20000D6C
	v_mul_f32_e64 v5, -v109, s6                                // 00000000ECEC: D1050005 20000D6D
	v_mul_f32_e64 v6, -v110, s6                                // 00000000ECF4: D1050006 20000D6E
	v_mul_f32_e64 v7, -v111, s6                                // 00000000ECFC: D1050007 20000D6F
	v_exp_f32_e32 v4, v4                                       // 00000000ED04: 7E084104
	v_exp_f32_e32 v5, v5                                       // 00000000ED08: 7E0A4105
	v_exp_f32_e32 v6, v6                                       // 00000000ED0C: 7E0C4106
	v_exp_f32_e32 v7, v7                                       // 00000000ED10: 7E0E4107
	v_add_f32_e64 v4, v4, 1.0                                  // 00000000ED14: D1010004 0001E504
	v_add_f32_e64 v5, v5, 1.0                                  // 00000000ED1C: D1010005 0001E505
	v_add_f32_e64 v6, v6, 1.0                                  // 00000000ED24: D1010006 0001E506
	v_add_f32_e64 v7, v7, 1.0                                  // 00000000ED2C: D1010007 0001E507
	v_rcp_f32_e32 v4, v4                                       // 00000000ED34: 7E084504
	v_rcp_f32_e32 v5, v5                                       // 00000000ED38: 7E0A4505
	v_rcp_f32_e32 v6, v6                                       // 00000000ED3C: 7E0C4506
	v_rcp_f32_e32 v7, v7                                       // 00000000ED40: 7E0E4507
	v_mul_f32_e32 v108, v108, v4                               // 00000000ED44: 0AD8096C
	v_mul_f32_e32 v109, v109, v5                               // 00000000ED48: 0ADA0B6D
	v_mul_f32_e32 v110, v110, v6                               // 00000000ED4C: 0ADC0D6E
	v_mul_f32_e32 v111, v111, v7                               // 00000000ED50: 0ADE0F6F
	v_mul_f32_e32 v108, v108, v188                             // 00000000ED54: 0AD9796C
	v_mul_f32_e32 v109, v109, v189                             // 00000000ED58: 0ADB7B6D
	v_mul_f32_e32 v110, v110, v190                             // 00000000ED5C: 0ADD7D6E
	v_mul_f32_e32 v111, v111, v191                             // 00000000ED60: 0ADF7F6F
	v_mul_f32_e64 v4, -v112, s6                                // 00000000ED64: D1050004 20000D70
	v_mul_f32_e64 v5, -v113, s6                                // 00000000ED6C: D1050005 20000D71
	v_mul_f32_e64 v6, -v114, s6                                // 00000000ED74: D1050006 20000D72
	v_mul_f32_e64 v7, -v115, s6                                // 00000000ED7C: D1050007 20000D73
	v_exp_f32_e32 v4, v4                                       // 00000000ED84: 7E084104
	v_exp_f32_e32 v5, v5                                       // 00000000ED88: 7E0A4105
	v_exp_f32_e32 v6, v6                                       // 00000000ED8C: 7E0C4106
	v_exp_f32_e32 v7, v7                                       // 00000000ED90: 7E0E4107
	v_add_f32_e64 v4, v4, 1.0                                  // 00000000ED94: D1010004 0001E504
	v_add_f32_e64 v5, v5, 1.0                                  // 00000000ED9C: D1010005 0001E505
	v_add_f32_e64 v6, v6, 1.0                                  // 00000000EDA4: D1010006 0001E506
	v_add_f32_e64 v7, v7, 1.0                                  // 00000000EDAC: D1010007 0001E507
	v_rcp_f32_e32 v4, v4                                       // 00000000EDB4: 7E084504
	v_rcp_f32_e32 v5, v5                                       // 00000000EDB8: 7E0A4505
	v_rcp_f32_e32 v6, v6                                       // 00000000EDBC: 7E0C4506
	v_rcp_f32_e32 v7, v7                                       // 00000000EDC0: 7E0E4507
	v_mul_f32_e32 v112, v112, v4                               // 00000000EDC4: 0AE00970
	v_mul_f32_e32 v113, v113, v5                               // 00000000EDC8: 0AE20B71
	v_mul_f32_e32 v114, v114, v6                               // 00000000EDCC: 0AE40D72
	v_mul_f32_e32 v115, v115, v7                               // 00000000EDD0: 0AE60F73
	v_mul_f32_e32 v112, v112, v192                             // 00000000EDD4: 0AE18170
	v_mul_f32_e32 v113, v113, v193                             // 00000000EDD8: 0AE38371
	v_mul_f32_e32 v114, v114, v194                             // 00000000EDDC: 0AE58572
	v_mul_f32_e32 v115, v115, v195                             // 00000000EDE0: 0AE78773
	v_mul_f32_e64 v4, -v116, s6                                // 00000000EDE4: D1050004 20000D74
	v_mul_f32_e64 v5, -v117, s6                                // 00000000EDEC: D1050005 20000D75
	v_mul_f32_e64 v6, -v118, s6                                // 00000000EDF4: D1050006 20000D76
	v_mul_f32_e64 v7, -v119, s6                                // 00000000EDFC: D1050007 20000D77
	v_exp_f32_e32 v4, v4                                       // 00000000EE04: 7E084104
	v_exp_f32_e32 v5, v5                                       // 00000000EE08: 7E0A4105
	v_exp_f32_e32 v6, v6                                       // 00000000EE0C: 7E0C4106
	v_exp_f32_e32 v7, v7                                       // 00000000EE10: 7E0E4107
	v_add_f32_e64 v4, v4, 1.0                                  // 00000000EE14: D1010004 0001E504
	v_add_f32_e64 v5, v5, 1.0                                  // 00000000EE1C: D1010005 0001E505
	v_add_f32_e64 v6, v6, 1.0                                  // 00000000EE24: D1010006 0001E506
	v_add_f32_e64 v7, v7, 1.0                                  // 00000000EE2C: D1010007 0001E507
	v_rcp_f32_e32 v4, v4                                       // 00000000EE34: 7E084504
	v_rcp_f32_e32 v5, v5                                       // 00000000EE38: 7E0A4505
	v_rcp_f32_e32 v6, v6                                       // 00000000EE3C: 7E0C4506
	v_rcp_f32_e32 v7, v7                                       // 00000000EE40: 7E0E4507
	v_mul_f32_e32 v116, v116, v4                               // 00000000EE44: 0AE80974
	v_mul_f32_e32 v117, v117, v5                               // 00000000EE48: 0AEA0B75
	v_mul_f32_e32 v118, v118, v6                               // 00000000EE4C: 0AEC0D76
	v_mul_f32_e32 v119, v119, v7                               // 00000000EE50: 0AEE0F77
	v_mul_f32_e32 v116, v116, v196                             // 00000000EE54: 0AE98974
	v_mul_f32_e32 v117, v117, v197                             // 00000000EE58: 0AEB8B75
	v_mul_f32_e32 v118, v118, v198                             // 00000000EE5C: 0AED8D76
	v_mul_f32_e32 v119, v119, v199                             // 00000000EE60: 0AEF8F77
	v_mul_f32_e64 v4, -v120, s6                                // 00000000EE64: D1050004 20000D78
	v_mul_f32_e64 v5, -v121, s6                                // 00000000EE6C: D1050005 20000D79
	v_mul_f32_e64 v6, -v122, s6                                // 00000000EE74: D1050006 20000D7A
	v_mul_f32_e64 v7, -v123, s6                                // 00000000EE7C: D1050007 20000D7B
	v_exp_f32_e32 v4, v4                                       // 00000000EE84: 7E084104
	v_exp_f32_e32 v5, v5                                       // 00000000EE88: 7E0A4105
	v_exp_f32_e32 v6, v6                                       // 00000000EE8C: 7E0C4106
	v_exp_f32_e32 v7, v7                                       // 00000000EE90: 7E0E4107
	v_add_f32_e64 v4, v4, 1.0                                  // 00000000EE94: D1010004 0001E504
	v_add_f32_e64 v5, v5, 1.0                                  // 00000000EE9C: D1010005 0001E505
	v_add_f32_e64 v6, v6, 1.0                                  // 00000000EEA4: D1010006 0001E506
	v_add_f32_e64 v7, v7, 1.0                                  // 00000000EEAC: D1010007 0001E507
	v_rcp_f32_e32 v4, v4                                       // 00000000EEB4: 7E084504
	v_rcp_f32_e32 v5, v5                                       // 00000000EEB8: 7E0A4505
	v_rcp_f32_e32 v6, v6                                       // 00000000EEBC: 7E0C4506
	v_rcp_f32_e32 v7, v7                                       // 00000000EEC0: 7E0E4507
	v_mul_f32_e32 v120, v120, v4                               // 00000000EEC4: 0AF00978
	v_mul_f32_e32 v121, v121, v5                               // 00000000EEC8: 0AF20B79
	v_mul_f32_e32 v122, v122, v6                               // 00000000EECC: 0AF40D7A
	v_mul_f32_e32 v123, v123, v7                               // 00000000EED0: 0AF60F7B
	v_mul_f32_e32 v120, v120, v200                             // 00000000EED4: 0AF19178
	v_mul_f32_e32 v121, v121, v201                             // 00000000EED8: 0AF39379
	v_mul_f32_e32 v122, v122, v202                             // 00000000EEDC: 0AF5957A
	v_mul_f32_e32 v123, v123, v203                             // 00000000EEE0: 0AF7977B
	v_mul_f32_e64 v4, -v124, s6                                // 00000000EEE4: D1050004 20000D7C
	v_mul_f32_e64 v5, -v125, s6                                // 00000000EEEC: D1050005 20000D7D
	v_mul_f32_e64 v6, -v126, s6                                // 00000000EEF4: D1050006 20000D7E
	v_mul_f32_e64 v7, -v127, s6                                // 00000000EEFC: D1050007 20000D7F
	v_exp_f32_e32 v4, v4                                       // 00000000EF04: 7E084104
	v_exp_f32_e32 v5, v5                                       // 00000000EF08: 7E0A4105
	v_exp_f32_e32 v6, v6                                       // 00000000EF0C: 7E0C4106
	v_exp_f32_e32 v7, v7                                       // 00000000EF10: 7E0E4107
	v_add_f32_e64 v4, v4, 1.0                                  // 00000000EF14: D1010004 0001E504
	v_add_f32_e64 v5, v5, 1.0                                  // 00000000EF1C: D1010005 0001E505
	v_add_f32_e64 v6, v6, 1.0                                  // 00000000EF24: D1010006 0001E506
	v_add_f32_e64 v7, v7, 1.0                                  // 00000000EF2C: D1010007 0001E507
	v_rcp_f32_e32 v4, v4                                       // 00000000EF34: 7E084504
	v_rcp_f32_e32 v5, v5                                       // 00000000EF38: 7E0A4505
	v_rcp_f32_e32 v6, v6                                       // 00000000EF3C: 7E0C4506
	v_rcp_f32_e32 v7, v7                                       // 00000000EF40: 7E0E4507
	v_mul_f32_e32 v124, v124, v4                               // 00000000EF44: 0AF8097C
	v_mul_f32_e32 v125, v125, v5                               // 00000000EF48: 0AFA0B7D
	v_mul_f32_e32 v126, v126, v6                               // 00000000EF4C: 0AFC0D7E
	v_mul_f32_e32 v127, v127, v7                               // 00000000EF50: 0AFE0F7F
	v_mul_f32_e32 v124, v124, v204                             // 00000000EF54: 0AF9997C
	v_mul_f32_e32 v125, v125, v205                             // 00000000EF58: 0AFB9B7D
	v_mul_f32_e32 v126, v126, v206                             // 00000000EF5C: 0AFD9D7E
	v_mul_f32_e32 v127, v127, v207                             // 00000000EF60: 0AFF9F7F
	v_mul_f32_e64 v4, -v128, s6                                // 00000000EF64: D1050004 20000D80
	v_mul_f32_e64 v5, -v129, s6                                // 00000000EF6C: D1050005 20000D81
	v_mul_f32_e64 v6, -v130, s6                                // 00000000EF74: D1050006 20000D82
	v_mul_f32_e64 v7, -v131, s6                                // 00000000EF7C: D1050007 20000D83
	v_exp_f32_e32 v4, v4                                       // 00000000EF84: 7E084104
	v_exp_f32_e32 v5, v5                                       // 00000000EF88: 7E0A4105
	v_exp_f32_e32 v6, v6                                       // 00000000EF8C: 7E0C4106
	v_exp_f32_e32 v7, v7                                       // 00000000EF90: 7E0E4107
	v_add_f32_e64 v4, v4, 1.0                                  // 00000000EF94: D1010004 0001E504
	v_add_f32_e64 v5, v5, 1.0                                  // 00000000EF9C: D1010005 0001E505
	v_add_f32_e64 v6, v6, 1.0                                  // 00000000EFA4: D1010006 0001E506
	v_add_f32_e64 v7, v7, 1.0                                  // 00000000EFAC: D1010007 0001E507
	v_rcp_f32_e32 v4, v4                                       // 00000000EFB4: 7E084504
	v_rcp_f32_e32 v5, v5                                       // 00000000EFB8: 7E0A4505
	v_rcp_f32_e32 v6, v6                                       // 00000000EFBC: 7E0C4506
	v_rcp_f32_e32 v7, v7                                       // 00000000EFC0: 7E0E4507
	v_mul_f32_e32 v128, v128, v4                               // 00000000EFC4: 0B000980
	v_mul_f32_e32 v129, v129, v5                               // 00000000EFC8: 0B020B81
	v_mul_f32_e32 v130, v130, v6                               // 00000000EFCC: 0B040D82
	v_mul_f32_e32 v131, v131, v7                               // 00000000EFD0: 0B060F83
	v_mul_f32_e32 v128, v128, v208                             // 00000000EFD4: 0B01A180
	v_mul_f32_e32 v129, v129, v209                             // 00000000EFD8: 0B03A381
	v_mul_f32_e32 v130, v130, v210                             // 00000000EFDC: 0B05A582
	v_mul_f32_e32 v131, v131, v211                             // 00000000EFE0: 0B07A783
	v_mul_f32_e64 v4, -v132, s6                                // 00000000EFE4: D1050004 20000D84
	v_mul_f32_e64 v5, -v133, s6                                // 00000000EFEC: D1050005 20000D85
	v_mul_f32_e64 v6, -v134, s6                                // 00000000EFF4: D1050006 20000D86
	v_mul_f32_e64 v7, -v135, s6                                // 00000000EFFC: D1050007 20000D87
	v_exp_f32_e32 v4, v4                                       // 00000000F004: 7E084104
	v_exp_f32_e32 v5, v5                                       // 00000000F008: 7E0A4105
	v_exp_f32_e32 v6, v6                                       // 00000000F00C: 7E0C4106
	v_exp_f32_e32 v7, v7                                       // 00000000F010: 7E0E4107
	v_add_f32_e64 v4, v4, 1.0                                  // 00000000F014: D1010004 0001E504
	v_add_f32_e64 v5, v5, 1.0                                  // 00000000F01C: D1010005 0001E505
	v_add_f32_e64 v6, v6, 1.0                                  // 00000000F024: D1010006 0001E506
	v_add_f32_e64 v7, v7, 1.0                                  // 00000000F02C: D1010007 0001E507
	v_rcp_f32_e32 v4, v4                                       // 00000000F034: 7E084504
	v_rcp_f32_e32 v5, v5                                       // 00000000F038: 7E0A4505
	v_rcp_f32_e32 v6, v6                                       // 00000000F03C: 7E0C4506
	v_rcp_f32_e32 v7, v7                                       // 00000000F040: 7E0E4507
	v_mul_f32_e32 v132, v132, v4                               // 00000000F044: 0B080984
	v_mul_f32_e32 v133, v133, v5                               // 00000000F048: 0B0A0B85
	v_mul_f32_e32 v134, v134, v6                               // 00000000F04C: 0B0C0D86
	v_mul_f32_e32 v135, v135, v7                               // 00000000F050: 0B0E0F87
	v_mul_f32_e32 v132, v132, v212                             // 00000000F054: 0B09A984
	v_mul_f32_e32 v133, v133, v213                             // 00000000F058: 0B0BAB85
	v_mul_f32_e32 v134, v134, v214                             // 00000000F05C: 0B0DAD86
	v_mul_f32_e32 v135, v135, v215                             // 00000000F060: 0B0FAF87
	v_mul_f32_e64 v4, -v136, s6                                // 00000000F064: D1050004 20000D88
	v_mul_f32_e64 v5, -v137, s6                                // 00000000F06C: D1050005 20000D89
	v_mul_f32_e64 v6, -v138, s6                                // 00000000F074: D1050006 20000D8A
	v_mul_f32_e64 v7, -v139, s6                                // 00000000F07C: D1050007 20000D8B
	v_exp_f32_e32 v4, v4                                       // 00000000F084: 7E084104
	v_exp_f32_e32 v5, v5                                       // 00000000F088: 7E0A4105
	v_exp_f32_e32 v6, v6                                       // 00000000F08C: 7E0C4106
	v_exp_f32_e32 v7, v7                                       // 00000000F090: 7E0E4107
	v_add_f32_e64 v4, v4, 1.0                                  // 00000000F094: D1010004 0001E504
	v_add_f32_e64 v5, v5, 1.0                                  // 00000000F09C: D1010005 0001E505
	v_add_f32_e64 v6, v6, 1.0                                  // 00000000F0A4: D1010006 0001E506
	v_add_f32_e64 v7, v7, 1.0                                  // 00000000F0AC: D1010007 0001E507
	v_rcp_f32_e32 v4, v4                                       // 00000000F0B4: 7E084504
	v_rcp_f32_e32 v5, v5                                       // 00000000F0B8: 7E0A4505
	v_rcp_f32_e32 v6, v6                                       // 00000000F0BC: 7E0C4506
	v_rcp_f32_e32 v7, v7                                       // 00000000F0C0: 7E0E4507
	v_mul_f32_e32 v136, v136, v4                               // 00000000F0C4: 0B100988
	v_mul_f32_e32 v137, v137, v5                               // 00000000F0C8: 0B120B89
	v_mul_f32_e32 v138, v138, v6                               // 00000000F0CC: 0B140D8A
	v_mul_f32_e32 v139, v139, v7                               // 00000000F0D0: 0B160F8B
	v_mul_f32_e32 v136, v136, v216                             // 00000000F0D4: 0B11B188
	v_mul_f32_e32 v137, v137, v217                             // 00000000F0D8: 0B13B389
	v_mul_f32_e32 v138, v138, v218                             // 00000000F0DC: 0B15B58A
	v_mul_f32_e32 v139, v139, v219                             // 00000000F0E0: 0B17B78B
	v_mul_f32_e64 v4, -v140, s6                                // 00000000F0E4: D1050004 20000D8C
	v_mul_f32_e64 v5, -v141, s6                                // 00000000F0EC: D1050005 20000D8D
	v_mul_f32_e64 v6, -v142, s6                                // 00000000F0F4: D1050006 20000D8E
	v_mul_f32_e64 v7, -v143, s6                                // 00000000F0FC: D1050007 20000D8F
	v_exp_f32_e32 v4, v4                                       // 00000000F104: 7E084104
	v_exp_f32_e32 v5, v5                                       // 00000000F108: 7E0A4105
	v_exp_f32_e32 v6, v6                                       // 00000000F10C: 7E0C4106
	v_exp_f32_e32 v7, v7                                       // 00000000F110: 7E0E4107
	v_add_f32_e64 v4, v4, 1.0                                  // 00000000F114: D1010004 0001E504
	v_add_f32_e64 v5, v5, 1.0                                  // 00000000F11C: D1010005 0001E505
	v_add_f32_e64 v6, v6, 1.0                                  // 00000000F124: D1010006 0001E506
	v_add_f32_e64 v7, v7, 1.0                                  // 00000000F12C: D1010007 0001E507
	v_rcp_f32_e32 v4, v4                                       // 00000000F134: 7E084504
	v_rcp_f32_e32 v5, v5                                       // 00000000F138: 7E0A4505
	v_rcp_f32_e32 v6, v6                                       // 00000000F13C: 7E0C4506
	v_rcp_f32_e32 v7, v7                                       // 00000000F140: 7E0E4507
	v_mul_f32_e32 v140, v140, v4                               // 00000000F144: 0B18098C
	v_mul_f32_e32 v141, v141, v5                               // 00000000F148: 0B1A0B8D
	v_mul_f32_e32 v142, v142, v6                               // 00000000F14C: 0B1C0D8E
	v_mul_f32_e32 v143, v143, v7                               // 00000000F150: 0B1E0F8F
	v_mul_f32_e32 v140, v140, v220                             // 00000000F154: 0B19B98C
	v_mul_f32_e32 v141, v141, v221                             // 00000000F158: 0B1BBB8D
	v_mul_f32_e32 v142, v142, v222                             // 00000000F15C: 0B1DBD8E
	v_mul_f32_e32 v143, v143, v223                             // 00000000F160: 0B1FBF8F

000000000000f164 <label_31DC>:
	v_cmp_u_f32_e64 s[46:47], v64, v64                         // 00000000F164: D048002E 00028140
	v_add3_u32 v16, v64, v19, 1                                // 00000000F16C: D1FF0010 02062740
	v_cndmask_b32_e64 v4, v16, v18, s[46:47]                   // 00000000F174: D1000004 00BA2510
	v_cmp_u_f32_e64 s[46:47], v65, v65                         // 00000000F17C: D048002E 00028341
	v_add3_u32 v16, v65, v19, 1                                // 00000000F184: D1FF0010 02062741
	v_cndmask_b32_e64 v5, v16, v18, s[46:47]                   // 00000000F18C: D1000005 00BA2510
	v_perm_b32 v64, v5, v4, s52                                // 00000000F194: D1ED0040 00D20905
	v_cmp_u_f32_e64 s[46:47], v66, v66                         // 00000000F19C: D048002E 00028542
	v_add3_u32 v16, v66, v19, 1                                // 00000000F1A4: D1FF0010 02062742
	v_cndmask_b32_e64 v4, v16, v18, s[46:47]                   // 00000000F1AC: D1000004 00BA2510
	v_cmp_u_f32_e64 s[46:47], v67, v67                         // 00000000F1B4: D048002E 00028743
	v_add3_u32 v16, v67, v19, 1                                // 00000000F1BC: D1FF0010 02062743
	v_cndmask_b32_e64 v5, v16, v18, s[46:47]                   // 00000000F1C4: D1000005 00BA2510
	v_perm_b32 v65, v5, v4, s52                                // 00000000F1CC: D1ED0041 00D20905
	v_cmp_u_f32_e64 s[46:47], v68, v68                         // 00000000F1D4: D048002E 00028944
	v_add3_u32 v16, v68, v19, 1                                // 00000000F1DC: D1FF0010 02062744
	v_cndmask_b32_e64 v4, v16, v18, s[46:47]                   // 00000000F1E4: D1000004 00BA2510
	v_cmp_u_f32_e64 s[46:47], v69, v69                         // 00000000F1EC: D048002E 00028B45
	v_add3_u32 v16, v69, v19, 1                                // 00000000F1F4: D1FF0010 02062745
	v_cndmask_b32_e64 v5, v16, v18, s[46:47]                   // 00000000F1FC: D1000005 00BA2510
	v_perm_b32 v66, v5, v4, s52                                // 00000000F204: D1ED0042 00D20905
	v_cmp_u_f32_e64 s[46:47], v70, v70                         // 00000000F20C: D048002E 00028D46
	v_add3_u32 v16, v70, v19, 1                                // 00000000F214: D1FF0010 02062746
	v_cndmask_b32_e64 v4, v16, v18, s[46:47]                   // 00000000F21C: D1000004 00BA2510
	v_cmp_u_f32_e64 s[46:47], v71, v71                         // 00000000F224: D048002E 00028F47
	v_add3_u32 v16, v71, v19, 1                                // 00000000F22C: D1FF0010 02062747
	v_cndmask_b32_e64 v5, v16, v18, s[46:47]                   // 00000000F234: D1000005 00BA2510
	v_perm_b32 v67, v5, v4, s52                                // 00000000F23C: D1ED0043 00D20905
	v_cmp_u_f32_e64 s[46:47], v72, v72                         // 00000000F244: D048002E 00029148
	v_add3_u32 v16, v72, v19, 1                                // 00000000F24C: D1FF0010 02062748
	v_cndmask_b32_e64 v4, v16, v18, s[46:47]                   // 00000000F254: D1000004 00BA2510
	v_cmp_u_f32_e64 s[46:47], v73, v73                         // 00000000F25C: D048002E 00029349
	v_add3_u32 v16, v73, v19, 1                                // 00000000F264: D1FF0010 02062749
	v_cndmask_b32_e64 v5, v16, v18, s[46:47]                   // 00000000F26C: D1000005 00BA2510
	v_perm_b32 v68, v5, v4, s52                                // 00000000F274: D1ED0044 00D20905
	v_cmp_u_f32_e64 s[46:47], v74, v74                         // 00000000F27C: D048002E 0002954A
	v_add3_u32 v16, v74, v19, 1                                // 00000000F284: D1FF0010 0206274A
	v_cndmask_b32_e64 v4, v16, v18, s[46:47]                   // 00000000F28C: D1000004 00BA2510
	v_cmp_u_f32_e64 s[46:47], v75, v75                         // 00000000F294: D048002E 0002974B
	v_add3_u32 v16, v75, v19, 1                                // 00000000F29C: D1FF0010 0206274B
	v_cndmask_b32_e64 v5, v16, v18, s[46:47]                   // 00000000F2A4: D1000005 00BA2510
	v_perm_b32 v69, v5, v4, s52                                // 00000000F2AC: D1ED0045 00D20905
	v_cmp_u_f32_e64 s[46:47], v76, v76                         // 00000000F2B4: D048002E 0002994C
	v_add3_u32 v16, v76, v19, 1                                // 00000000F2BC: D1FF0010 0206274C
	v_cndmask_b32_e64 v4, v16, v18, s[46:47]                   // 00000000F2C4: D1000004 00BA2510
	v_cmp_u_f32_e64 s[46:47], v77, v77                         // 00000000F2CC: D048002E 00029B4D
	v_add3_u32 v16, v77, v19, 1                                // 00000000F2D4: D1FF0010 0206274D
	v_cndmask_b32_e64 v5, v16, v18, s[46:47]                   // 00000000F2DC: D1000005 00BA2510
	v_perm_b32 v70, v5, v4, s52                                // 00000000F2E4: D1ED0046 00D20905
	v_cmp_u_f32_e64 s[46:47], v78, v78                         // 00000000F2EC: D048002E 00029D4E
	v_add3_u32 v16, v78, v19, 1                                // 00000000F2F4: D1FF0010 0206274E
	v_cndmask_b32_e64 v4, v16, v18, s[46:47]                   // 00000000F2FC: D1000004 00BA2510
	v_cmp_u_f32_e64 s[46:47], v79, v79                         // 00000000F304: D048002E 00029F4F
	v_add3_u32 v16, v79, v19, 1                                // 00000000F30C: D1FF0010 0206274F
	v_cndmask_b32_e64 v5, v16, v18, s[46:47]                   // 00000000F314: D1000005 00BA2510
	v_perm_b32 v71, v5, v4, s52                                // 00000000F31C: D1ED0047 00D20905
	v_cmp_u_f32_e64 s[46:47], v80, v80                         // 00000000F324: D048002E 0002A150
	v_add3_u32 v16, v80, v19, 1                                // 00000000F32C: D1FF0010 02062750
	v_cndmask_b32_e64 v4, v16, v18, s[46:47]                   // 00000000F334: D1000004 00BA2510
	v_cmp_u_f32_e64 s[46:47], v81, v81                         // 00000000F33C: D048002E 0002A351
	v_add3_u32 v16, v81, v19, 1                                // 00000000F344: D1FF0010 02062751
	v_cndmask_b32_e64 v5, v16, v18, s[46:47]                   // 00000000F34C: D1000005 00BA2510
	v_perm_b32 v72, v5, v4, s52                                // 00000000F354: D1ED0048 00D20905
	v_cmp_u_f32_e64 s[46:47], v82, v82                         // 00000000F35C: D048002E 0002A552
	v_add3_u32 v16, v82, v19, 1                                // 00000000F364: D1FF0010 02062752
	v_cndmask_b32_e64 v4, v16, v18, s[46:47]                   // 00000000F36C: D1000004 00BA2510
	v_cmp_u_f32_e64 s[46:47], v83, v83                         // 00000000F374: D048002E 0002A753
	v_add3_u32 v16, v83, v19, 1                                // 00000000F37C: D1FF0010 02062753
	v_cndmask_b32_e64 v5, v16, v18, s[46:47]                   // 00000000F384: D1000005 00BA2510
	v_perm_b32 v73, v5, v4, s52                                // 00000000F38C: D1ED0049 00D20905
	v_cmp_u_f32_e64 s[46:47], v84, v84                         // 00000000F394: D048002E 0002A954
	v_add3_u32 v16, v84, v19, 1                                // 00000000F39C: D1FF0010 02062754
	v_cndmask_b32_e64 v4, v16, v18, s[46:47]                   // 00000000F3A4: D1000004 00BA2510
	v_cmp_u_f32_e64 s[46:47], v85, v85                         // 00000000F3AC: D048002E 0002AB55
	v_add3_u32 v16, v85, v19, 1                                // 00000000F3B4: D1FF0010 02062755
	v_cndmask_b32_e64 v5, v16, v18, s[46:47]                   // 00000000F3BC: D1000005 00BA2510
	v_perm_b32 v74, v5, v4, s52                                // 00000000F3C4: D1ED004A 00D20905
	v_cmp_u_f32_e64 s[46:47], v86, v86                         // 00000000F3CC: D048002E 0002AD56
	v_add3_u32 v16, v86, v19, 1                                // 00000000F3D4: D1FF0010 02062756
	v_cndmask_b32_e64 v4, v16, v18, s[46:47]                   // 00000000F3DC: D1000004 00BA2510
	v_cmp_u_f32_e64 s[46:47], v87, v87                         // 00000000F3E4: D048002E 0002AF57
	v_add3_u32 v16, v87, v19, 1                                // 00000000F3EC: D1FF0010 02062757
	v_cndmask_b32_e64 v5, v16, v18, s[46:47]                   // 00000000F3F4: D1000005 00BA2510
	v_perm_b32 v75, v5, v4, s52                                // 00000000F3FC: D1ED004B 00D20905
	v_cmp_u_f32_e64 s[46:47], v88, v88                         // 00000000F404: D048002E 0002B158
	v_add3_u32 v16, v88, v19, 1                                // 00000000F40C: D1FF0010 02062758
	v_cndmask_b32_e64 v4, v16, v18, s[46:47]                   // 00000000F414: D1000004 00BA2510
	v_cmp_u_f32_e64 s[46:47], v89, v89                         // 00000000F41C: D048002E 0002B359
	v_add3_u32 v16, v89, v19, 1                                // 00000000F424: D1FF0010 02062759
	v_cndmask_b32_e64 v5, v16, v18, s[46:47]                   // 00000000F42C: D1000005 00BA2510
	v_perm_b32 v76, v5, v4, s52                                // 00000000F434: D1ED004C 00D20905
	v_cmp_u_f32_e64 s[46:47], v90, v90                         // 00000000F43C: D048002E 0002B55A
	v_add3_u32 v16, v90, v19, 1                                // 00000000F444: D1FF0010 0206275A
	v_cndmask_b32_e64 v4, v16, v18, s[46:47]                   // 00000000F44C: D1000004 00BA2510
	v_cmp_u_f32_e64 s[46:47], v91, v91                         // 00000000F454: D048002E 0002B75B
	v_add3_u32 v16, v91, v19, 1                                // 00000000F45C: D1FF0010 0206275B
	v_cndmask_b32_e64 v5, v16, v18, s[46:47]                   // 00000000F464: D1000005 00BA2510
	v_perm_b32 v77, v5, v4, s52                                // 00000000F46C: D1ED004D 00D20905
	v_cmp_u_f32_e64 s[46:47], v92, v92                         // 00000000F474: D048002E 0002B95C
	v_add3_u32 v16, v92, v19, 1                                // 00000000F47C: D1FF0010 0206275C
	v_cndmask_b32_e64 v4, v16, v18, s[46:47]                   // 00000000F484: D1000004 00BA2510
	v_cmp_u_f32_e64 s[46:47], v93, v93                         // 00000000F48C: D048002E 0002BB5D
	v_add3_u32 v16, v93, v19, 1                                // 00000000F494: D1FF0010 0206275D
	v_cndmask_b32_e64 v5, v16, v18, s[46:47]                   // 00000000F49C: D1000005 00BA2510
	v_perm_b32 v78, v5, v4, s52                                // 00000000F4A4: D1ED004E 00D20905
	v_cmp_u_f32_e64 s[46:47], v94, v94                         // 00000000F4AC: D048002E 0002BD5E
	v_add3_u32 v16, v94, v19, 1                                // 00000000F4B4: D1FF0010 0206275E
	v_cndmask_b32_e64 v4, v16, v18, s[46:47]                   // 00000000F4BC: D1000004 00BA2510
	v_cmp_u_f32_e64 s[46:47], v95, v95                         // 00000000F4C4: D048002E 0002BF5F
	v_add3_u32 v16, v95, v19, 1                                // 00000000F4CC: D1FF0010 0206275F
	v_cndmask_b32_e64 v5, v16, v18, s[46:47]                   // 00000000F4D4: D1000005 00BA2510
	v_perm_b32 v79, v5, v4, s52                                // 00000000F4DC: D1ED004F 00D20905
	v_cmp_u_f32_e64 s[46:47], v96, v96                         // 00000000F4E4: D048002E 0002C160
	v_add3_u32 v16, v96, v19, 1                                // 00000000F4EC: D1FF0010 02062760
	v_cndmask_b32_e64 v4, v16, v18, s[46:47]                   // 00000000F4F4: D1000004 00BA2510
	v_cmp_u_f32_e64 s[46:47], v97, v97                         // 00000000F4FC: D048002E 0002C361
	v_add3_u32 v16, v97, v19, 1                                // 00000000F504: D1FF0010 02062761
	v_cndmask_b32_e64 v5, v16, v18, s[46:47]                   // 00000000F50C: D1000005 00BA2510
	v_perm_b32 v80, v5, v4, s52                                // 00000000F514: D1ED0050 00D20905
	v_cmp_u_f32_e64 s[46:47], v98, v98                         // 00000000F51C: D048002E 0002C562
	v_add3_u32 v16, v98, v19, 1                                // 00000000F524: D1FF0010 02062762
	v_cndmask_b32_e64 v4, v16, v18, s[46:47]                   // 00000000F52C: D1000004 00BA2510
	v_cmp_u_f32_e64 s[46:47], v99, v99                         // 00000000F534: D048002E 0002C763
	v_add3_u32 v16, v99, v19, 1                                // 00000000F53C: D1FF0010 02062763
	v_cndmask_b32_e64 v5, v16, v18, s[46:47]                   // 00000000F544: D1000005 00BA2510
	v_perm_b32 v81, v5, v4, s52                                // 00000000F54C: D1ED0051 00D20905
	v_cmp_u_f32_e64 s[46:47], v100, v100                       // 00000000F554: D048002E 0002C964
	v_add3_u32 v16, v100, v19, 1                               // 00000000F55C: D1FF0010 02062764
	v_cndmask_b32_e64 v4, v16, v18, s[46:47]                   // 00000000F564: D1000004 00BA2510
	v_cmp_u_f32_e64 s[46:47], v101, v101                       // 00000000F56C: D048002E 0002CB65
	v_add3_u32 v16, v101, v19, 1                               // 00000000F574: D1FF0010 02062765
	v_cndmask_b32_e64 v5, v16, v18, s[46:47]                   // 00000000F57C: D1000005 00BA2510
	v_perm_b32 v82, v5, v4, s52                                // 00000000F584: D1ED0052 00D20905
	v_cmp_u_f32_e64 s[46:47], v102, v102                       // 00000000F58C: D048002E 0002CD66
	v_add3_u32 v16, v102, v19, 1                               // 00000000F594: D1FF0010 02062766
	v_cndmask_b32_e64 v4, v16, v18, s[46:47]                   // 00000000F59C: D1000004 00BA2510
	v_cmp_u_f32_e64 s[46:47], v103, v103                       // 00000000F5A4: D048002E 0002CF67
	v_add3_u32 v16, v103, v19, 1                               // 00000000F5AC: D1FF0010 02062767
	v_cndmask_b32_e64 v5, v16, v18, s[46:47]                   // 00000000F5B4: D1000005 00BA2510
	v_perm_b32 v83, v5, v4, s52                                // 00000000F5BC: D1ED0053 00D20905
	v_cmp_u_f32_e64 s[46:47], v104, v104                       // 00000000F5C4: D048002E 0002D168
	v_add3_u32 v16, v104, v19, 1                               // 00000000F5CC: D1FF0010 02062768
	v_cndmask_b32_e64 v4, v16, v18, s[46:47]                   // 00000000F5D4: D1000004 00BA2510
	v_cmp_u_f32_e64 s[46:47], v105, v105                       // 00000000F5DC: D048002E 0002D369
	v_add3_u32 v16, v105, v19, 1                               // 00000000F5E4: D1FF0010 02062769
	v_cndmask_b32_e64 v5, v16, v18, s[46:47]                   // 00000000F5EC: D1000005 00BA2510
	v_perm_b32 v84, v5, v4, s52                                // 00000000F5F4: D1ED0054 00D20905
	v_cmp_u_f32_e64 s[46:47], v106, v106                       // 00000000F5FC: D048002E 0002D56A
	v_add3_u32 v16, v106, v19, 1                               // 00000000F604: D1FF0010 0206276A
	v_cndmask_b32_e64 v4, v16, v18, s[46:47]                   // 00000000F60C: D1000004 00BA2510
	v_cmp_u_f32_e64 s[46:47], v107, v107                       // 00000000F614: D048002E 0002D76B
	v_add3_u32 v16, v107, v19, 1                               // 00000000F61C: D1FF0010 0206276B
	v_cndmask_b32_e64 v5, v16, v18, s[46:47]                   // 00000000F624: D1000005 00BA2510
	v_perm_b32 v85, v5, v4, s52                                // 00000000F62C: D1ED0055 00D20905
	v_cmp_u_f32_e64 s[46:47], v108, v108                       // 00000000F634: D048002E 0002D96C
	v_add3_u32 v16, v108, v19, 1                               // 00000000F63C: D1FF0010 0206276C
	v_cndmask_b32_e64 v4, v16, v18, s[46:47]                   // 00000000F644: D1000004 00BA2510
	v_cmp_u_f32_e64 s[46:47], v109, v109                       // 00000000F64C: D048002E 0002DB6D
	v_add3_u32 v16, v109, v19, 1                               // 00000000F654: D1FF0010 0206276D
	v_cndmask_b32_e64 v5, v16, v18, s[46:47]                   // 00000000F65C: D1000005 00BA2510
	v_perm_b32 v86, v5, v4, s52                                // 00000000F664: D1ED0056 00D20905
	v_cmp_u_f32_e64 s[46:47], v110, v110                       // 00000000F66C: D048002E 0002DD6E
	v_add3_u32 v16, v110, v19, 1                               // 00000000F674: D1FF0010 0206276E
	v_cndmask_b32_e64 v4, v16, v18, s[46:47]                   // 00000000F67C: D1000004 00BA2510
	v_cmp_u_f32_e64 s[46:47], v111, v111                       // 00000000F684: D048002E 0002DF6F
	v_add3_u32 v16, v111, v19, 1                               // 00000000F68C: D1FF0010 0206276F
	v_cndmask_b32_e64 v5, v16, v18, s[46:47]                   // 00000000F694: D1000005 00BA2510
	v_perm_b32 v87, v5, v4, s52                                // 00000000F69C: D1ED0057 00D20905
	v_cmp_u_f32_e64 s[46:47], v112, v112                       // 00000000F6A4: D048002E 0002E170
	v_add3_u32 v16, v112, v19, 1                               // 00000000F6AC: D1FF0010 02062770
	v_cndmask_b32_e64 v4, v16, v18, s[46:47]                   // 00000000F6B4: D1000004 00BA2510
	v_cmp_u_f32_e64 s[46:47], v113, v113                       // 00000000F6BC: D048002E 0002E371
	v_add3_u32 v16, v113, v19, 1                               // 00000000F6C4: D1FF0010 02062771
	v_cndmask_b32_e64 v5, v16, v18, s[46:47]                   // 00000000F6CC: D1000005 00BA2510
	v_perm_b32 v88, v5, v4, s52                                // 00000000F6D4: D1ED0058 00D20905
	v_cmp_u_f32_e64 s[46:47], v114, v114                       // 00000000F6DC: D048002E 0002E572
	v_add3_u32 v16, v114, v19, 1                               // 00000000F6E4: D1FF0010 02062772
	v_cndmask_b32_e64 v4, v16, v18, s[46:47]                   // 00000000F6EC: D1000004 00BA2510
	v_cmp_u_f32_e64 s[46:47], v115, v115                       // 00000000F6F4: D048002E 0002E773
	v_add3_u32 v16, v115, v19, 1                               // 00000000F6FC: D1FF0010 02062773
	v_cndmask_b32_e64 v5, v16, v18, s[46:47]                   // 00000000F704: D1000005 00BA2510
	v_perm_b32 v89, v5, v4, s52                                // 00000000F70C: D1ED0059 00D20905
	v_cmp_u_f32_e64 s[46:47], v116, v116                       // 00000000F714: D048002E 0002E974
	v_add3_u32 v16, v116, v19, 1                               // 00000000F71C: D1FF0010 02062774
	v_cndmask_b32_e64 v4, v16, v18, s[46:47]                   // 00000000F724: D1000004 00BA2510
	v_cmp_u_f32_e64 s[46:47], v117, v117                       // 00000000F72C: D048002E 0002EB75
	v_add3_u32 v16, v117, v19, 1                               // 00000000F734: D1FF0010 02062775
	v_cndmask_b32_e64 v5, v16, v18, s[46:47]                   // 00000000F73C: D1000005 00BA2510
	v_perm_b32 v90, v5, v4, s52                                // 00000000F744: D1ED005A 00D20905
	v_cmp_u_f32_e64 s[46:47], v118, v118                       // 00000000F74C: D048002E 0002ED76
	v_add3_u32 v16, v118, v19, 1                               // 00000000F754: D1FF0010 02062776
	v_cndmask_b32_e64 v4, v16, v18, s[46:47]                   // 00000000F75C: D1000004 00BA2510
	v_cmp_u_f32_e64 s[46:47], v119, v119                       // 00000000F764: D048002E 0002EF77
	v_add3_u32 v16, v119, v19, 1                               // 00000000F76C: D1FF0010 02062777
	v_cndmask_b32_e64 v5, v16, v18, s[46:47]                   // 00000000F774: D1000005 00BA2510
	v_perm_b32 v91, v5, v4, s52                                // 00000000F77C: D1ED005B 00D20905
	v_cmp_u_f32_e64 s[46:47], v120, v120                       // 00000000F784: D048002E 0002F178
	v_add3_u32 v16, v120, v19, 1                               // 00000000F78C: D1FF0010 02062778
	v_cndmask_b32_e64 v4, v16, v18, s[46:47]                   // 00000000F794: D1000004 00BA2510
	v_cmp_u_f32_e64 s[46:47], v121, v121                       // 00000000F79C: D048002E 0002F379
	v_add3_u32 v16, v121, v19, 1                               // 00000000F7A4: D1FF0010 02062779
	v_cndmask_b32_e64 v5, v16, v18, s[46:47]                   // 00000000F7AC: D1000005 00BA2510
	v_perm_b32 v92, v5, v4, s52                                // 00000000F7B4: D1ED005C 00D20905
	v_cmp_u_f32_e64 s[46:47], v122, v122                       // 00000000F7BC: D048002E 0002F57A
	v_add3_u32 v16, v122, v19, 1                               // 00000000F7C4: D1FF0010 0206277A
	v_cndmask_b32_e64 v4, v16, v18, s[46:47]                   // 00000000F7CC: D1000004 00BA2510
	v_cmp_u_f32_e64 s[46:47], v123, v123                       // 00000000F7D4: D048002E 0002F77B
	v_add3_u32 v16, v123, v19, 1                               // 00000000F7DC: D1FF0010 0206277B
	v_cndmask_b32_e64 v5, v16, v18, s[46:47]                   // 00000000F7E4: D1000005 00BA2510
	v_perm_b32 v93, v5, v4, s52                                // 00000000F7EC: D1ED005D 00D20905
	v_cmp_u_f32_e64 s[46:47], v124, v124                       // 00000000F7F4: D048002E 0002F97C
	v_add3_u32 v16, v124, v19, 1                               // 00000000F7FC: D1FF0010 0206277C
	v_cndmask_b32_e64 v4, v16, v18, s[46:47]                   // 00000000F804: D1000004 00BA2510
	v_cmp_u_f32_e64 s[46:47], v125, v125                       // 00000000F80C: D048002E 0002FB7D
	v_add3_u32 v16, v125, v19, 1                               // 00000000F814: D1FF0010 0206277D
	v_cndmask_b32_e64 v5, v16, v18, s[46:47]                   // 00000000F81C: D1000005 00BA2510
	v_perm_b32 v94, v5, v4, s52                                // 00000000F824: D1ED005E 00D20905
	v_cmp_u_f32_e64 s[46:47], v126, v126                       // 00000000F82C: D048002E 0002FD7E
	v_add3_u32 v16, v126, v19, 1                               // 00000000F834: D1FF0010 0206277E
	v_cndmask_b32_e64 v4, v16, v18, s[46:47]                   // 00000000F83C: D1000004 00BA2510
	v_cmp_u_f32_e64 s[46:47], v127, v127                       // 00000000F844: D048002E 0002FF7F
	v_add3_u32 v16, v127, v19, 1                               // 00000000F84C: D1FF0010 0206277F
	v_cndmask_b32_e64 v5, v16, v18, s[46:47]                   // 00000000F854: D1000005 00BA2510
	v_perm_b32 v95, v5, v4, s52                                // 00000000F85C: D1ED005F 00D20905
	v_cmp_u_f32_e64 s[46:47], v128, v128                       // 00000000F864: D048002E 00030180
	v_add3_u32 v16, v128, v19, 1                               // 00000000F86C: D1FF0010 02062780
	v_cndmask_b32_e64 v4, v16, v18, s[46:47]                   // 00000000F874: D1000004 00BA2510
	v_cmp_u_f32_e64 s[46:47], v129, v129                       // 00000000F87C: D048002E 00030381
	v_add3_u32 v16, v129, v19, 1                               // 00000000F884: D1FF0010 02062781
	v_cndmask_b32_e64 v5, v16, v18, s[46:47]                   // 00000000F88C: D1000005 00BA2510
	v_perm_b32 v96, v5, v4, s52                                // 00000000F894: D1ED0060 00D20905
	v_cmp_u_f32_e64 s[46:47], v130, v130                       // 00000000F89C: D048002E 00030582
	v_add3_u32 v16, v130, v19, 1                               // 00000000F8A4: D1FF0010 02062782
	v_cndmask_b32_e64 v4, v16, v18, s[46:47]                   // 00000000F8AC: D1000004 00BA2510
	v_cmp_u_f32_e64 s[46:47], v131, v131                       // 00000000F8B4: D048002E 00030783
	v_add3_u32 v16, v131, v19, 1                               // 00000000F8BC: D1FF0010 02062783
	v_cndmask_b32_e64 v5, v16, v18, s[46:47]                   // 00000000F8C4: D1000005 00BA2510
	v_perm_b32 v97, v5, v4, s52                                // 00000000F8CC: D1ED0061 00D20905
	v_cmp_u_f32_e64 s[46:47], v132, v132                       // 00000000F8D4: D048002E 00030984
	v_add3_u32 v16, v132, v19, 1                               // 00000000F8DC: D1FF0010 02062784
	v_cndmask_b32_e64 v4, v16, v18, s[46:47]                   // 00000000F8E4: D1000004 00BA2510
	v_cmp_u_f32_e64 s[46:47], v133, v133                       // 00000000F8EC: D048002E 00030B85
	v_add3_u32 v16, v133, v19, 1                               // 00000000F8F4: D1FF0010 02062785
	v_cndmask_b32_e64 v5, v16, v18, s[46:47]                   // 00000000F8FC: D1000005 00BA2510
	v_perm_b32 v98, v5, v4, s52                                // 00000000F904: D1ED0062 00D20905
	v_cmp_u_f32_e64 s[46:47], v134, v134                       // 00000000F90C: D048002E 00030D86
	v_add3_u32 v16, v134, v19, 1                               // 00000000F914: D1FF0010 02062786
	v_cndmask_b32_e64 v4, v16, v18, s[46:47]                   // 00000000F91C: D1000004 00BA2510
	v_cmp_u_f32_e64 s[46:47], v135, v135                       // 00000000F924: D048002E 00030F87
	v_add3_u32 v16, v135, v19, 1                               // 00000000F92C: D1FF0010 02062787
	v_cndmask_b32_e64 v5, v16, v18, s[46:47]                   // 00000000F934: D1000005 00BA2510
	v_perm_b32 v99, v5, v4, s52                                // 00000000F93C: D1ED0063 00D20905
	v_cmp_u_f32_e64 s[46:47], v136, v136                       // 00000000F944: D048002E 00031188
	v_add3_u32 v16, v136, v19, 1                               // 00000000F94C: D1FF0010 02062788
	v_cndmask_b32_e64 v4, v16, v18, s[46:47]                   // 00000000F954: D1000004 00BA2510
	v_cmp_u_f32_e64 s[46:47], v137, v137                       // 00000000F95C: D048002E 00031389
	v_add3_u32 v16, v137, v19, 1                               // 00000000F964: D1FF0010 02062789
	v_cndmask_b32_e64 v5, v16, v18, s[46:47]                   // 00000000F96C: D1000005 00BA2510
	v_perm_b32 v100, v5, v4, s52                               // 00000000F974: D1ED0064 00D20905
	v_cmp_u_f32_e64 s[46:47], v138, v138                       // 00000000F97C: D048002E 0003158A
	v_add3_u32 v16, v138, v19, 1                               // 00000000F984: D1FF0010 0206278A
	v_cndmask_b32_e64 v4, v16, v18, s[46:47]                   // 00000000F98C: D1000004 00BA2510
	v_cmp_u_f32_e64 s[46:47], v139, v139                       // 00000000F994: D048002E 0003178B
	v_add3_u32 v16, v139, v19, 1                               // 00000000F99C: D1FF0010 0206278B
	v_cndmask_b32_e64 v5, v16, v18, s[46:47]                   // 00000000F9A4: D1000005 00BA2510
	v_perm_b32 v101, v5, v4, s52                               // 00000000F9AC: D1ED0065 00D20905
	v_cmp_u_f32_e64 s[46:47], v140, v140                       // 00000000F9B4: D048002E 0003198C
	v_add3_u32 v16, v140, v19, 1                               // 00000000F9BC: D1FF0010 0206278C
	v_cndmask_b32_e64 v4, v16, v18, s[46:47]                   // 00000000F9C4: D1000004 00BA2510
	v_cmp_u_f32_e64 s[46:47], v141, v141                       // 00000000F9CC: D048002E 00031B8D
	v_add3_u32 v16, v141, v19, 1                               // 00000000F9D4: D1FF0010 0206278D
	v_cndmask_b32_e64 v5, v16, v18, s[46:47]                   // 00000000F9DC: D1000005 00BA2510
	v_perm_b32 v102, v5, v4, s52                               // 00000000F9E4: D1ED0066 00D20905
	v_cmp_u_f32_e64 s[46:47], v142, v142                       // 00000000F9EC: D048002E 00031D8E
	v_add3_u32 v16, v142, v19, 1                               // 00000000F9F4: D1FF0010 0206278E
	v_cndmask_b32_e64 v4, v16, v18, s[46:47]                   // 00000000F9FC: D1000004 00BA2510
	v_cmp_u_f32_e64 s[46:47], v143, v143                       // 00000000FA04: D048002E 00031F8F
	v_add3_u32 v16, v143, v19, 1                               // 00000000FA0C: D1FF0010 0206278F
	v_cndmask_b32_e64 v5, v16, v18, s[46:47]                   // 00000000FA14: D1000005 00BA2510
	v_perm_b32 v103, v5, v4, s52                               // 00000000FA1C: D1ED0067 00D20905
	ds_write_b64 v20, v[64:65]                                 // 00000000FA24: D89A0000 00004014
	ds_write_b64 v20, v[66:67] offset:8704                     // 00000000FA2C: D89A2200 00004214
	ds_write_b64 v20, v[68:69] offset:17408                    // 00000000FA34: D89A4400 00004414
	ds_write_b64 v20, v[70:71] offset:26112                    // 00000000FA3C: D89A6600 00004614
	ds_write_b64 v20, v[72:73] offset:34816                    // 00000000FA44: D89A8800 00004814
	ds_write_b64 v20, v[74:75] offset:2176                     // 00000000FA4C: D89A0880 00004A14
	ds_write_b64 v20, v[76:77] offset:10880                    // 00000000FA54: D89A2A80 00004C14
	ds_write_b64 v20, v[78:79] offset:19584                    // 00000000FA5C: D89A4C80 00004E14
	ds_write_b64 v20, v[80:81] offset:28288                    // 00000000FA64: D89A6E80 00005014
	ds_write_b64 v20, v[82:83] offset:36992                    // 00000000FA6C: D89A9080 00005214
	ds_write_b64 v20, v[84:85] offset:4352                     // 00000000FA74: D89A1100 00005414
	ds_write_b64 v20, v[86:87] offset:13056                    // 00000000FA7C: D89A3300 00005614
	ds_write_b64 v20, v[88:89] offset:21760                    // 00000000FA84: D89A5500 00005814
	ds_write_b64 v20, v[90:91] offset:30464                    // 00000000FA8C: D89A7700 00005A14
	ds_write_b64 v20, v[92:93] offset:39168                    // 00000000FA94: D89A9900 00005C14
	ds_write_b64 v20, v[94:95] offset:6528                     // 00000000FA9C: D89A1980 00005E14
	ds_write_b64 v20, v[96:97] offset:15232                    // 00000000FAA4: D89A3B80 00006014
	ds_write_b64 v20, v[98:99] offset:23936                    // 00000000FAAC: D89A5D80 00006214
	ds_write_b64 v20, v[100:101] offset:32640                  // 00000000FAB4: D89A7F80 00006414
	ds_write_b64 v20, v[102:103] offset:41344                  // 00000000FABC: D89AA180 00006614
	v_lshrrev_b32_e32 v4, 5, v0                                // 00000000FAC4: 20080085
	v_xor_b32_e32 v5, 1, v4                                    // 00000000FAC8: 2A0A0881
	s_mul_i32 s60, s65, 2                                      // 00000000FACC: 923C8241
	s_cmp_eq_u32 s88, 0                                        // 00000000FAD0: BF068058
	s_cselect_b32 s61, 1, 4                                    // 00000000FAD4: 853D8481
	s_mul_i32 s60, s61, s60                                    // 00000000FAD8: 923C3C3D
	v_readlane_b32 s82, v3, 0                                  // 00000000FADC: D2890052 00010103
	s_lshr_b32 s61, s82, 24                                    // 00000000FAE4: 8F3D9852
	s_and_b32 s82, s82, 0xffffff                               // 00000000FAE8: 8652FF52 00FFFFFF
	s_mul_i32 s82, s82, s71                                    // 00000000FAF0: 92524752
	s_mul_i32 s61, s60, s61                                    // 00000000FAF4: 923D3D3C
	s_add_u32 s82, s82, s61                                    // 00000000FAF8: 80523D52
	v_mul_lo_u32 v6, v5, s82                                   // 00000000FAFC: D2850006 0000A505
	v_readlane_b32 s82, v3, 1                                  // 00000000FB04: D2890052 00010303
	s_lshr_b32 s61, s82, 24                                    // 00000000FB0C: 8F3D9852
	s_and_b32 s82, s82, 0xffffff                               // 00000000FB10: 8652FF52 00FFFFFF
	s_mul_i32 s82, s82, s71                                    // 00000000FB18: 92524752
	s_mul_i32 s61, s60, s61                                    // 00000000FB1C: 923D3D3C
	s_add_u32 s82, s82, s61                                    // 00000000FB20: 80523D52
	v_mul_lo_u32 v7, v4, s82                                   // 00000000FB24: D2850007 0000A504
	v_add_u32_e32 v50, v6, v7                                  // 00000000FB2C: 68640F06
	v_readlane_b32 s82, v3, 2                                  // 00000000FB30: D2890052 00010503
	s_lshr_b32 s61, s82, 24                                    // 00000000FB38: 8F3D9852
	s_and_b32 s82, s82, 0xffffff                               // 00000000FB3C: 8652FF52 00FFFFFF
	s_mul_i32 s82, s82, s71                                    // 00000000FB44: 92524752
	s_mul_i32 s61, s60, s61                                    // 00000000FB48: 923D3D3C
	s_add_u32 s82, s82, s61                                    // 00000000FB4C: 80523D52
	v_mul_lo_u32 v6, v5, s82                                   // 00000000FB50: D2850006 0000A505
	v_readlane_b32 s82, v3, 3                                  // 00000000FB58: D2890052 00010703
	s_lshr_b32 s61, s82, 24                                    // 00000000FB60: 8F3D9852
	s_and_b32 s82, s82, 0xffffff                               // 00000000FB64: 8652FF52 00FFFFFF
	s_mul_i32 s82, s82, s71                                    // 00000000FB6C: 92524752
	s_mul_i32 s61, s60, s61                                    // 00000000FB70: 923D3D3C
	s_add_u32 s82, s82, s61                                    // 00000000FB74: 80523D52
	v_mul_lo_u32 v7, v4, s82                                   // 00000000FB78: D2850007 0000A504
	v_add_u32_e32 v51, v6, v7                                  // 00000000FB80: 68660F06
	v_readlane_b32 s82, v3, 4                                  // 00000000FB84: D2890052 00010903
	s_lshr_b32 s61, s82, 24                                    // 00000000FB8C: 8F3D9852
	s_and_b32 s82, s82, 0xffffff                               // 00000000FB90: 8652FF52 00FFFFFF
	s_mul_i32 s82, s82, s71                                    // 00000000FB98: 92524752
	s_mul_i32 s61, s60, s61                                    // 00000000FB9C: 923D3D3C
	s_add_u32 s82, s82, s61                                    // 00000000FBA0: 80523D52
	v_mul_lo_u32 v6, v5, s82                                   // 00000000FBA4: D2850006 0000A505
	v_readlane_b32 s82, v3, 5                                  // 00000000FBAC: D2890052 00010B03
	s_lshr_b32 s61, s82, 24                                    // 00000000FBB4: 8F3D9852
	s_and_b32 s82, s82, 0xffffff                               // 00000000FBB8: 8652FF52 00FFFFFF
	s_mul_i32 s82, s82, s71                                    // 00000000FBC0: 92524752
	s_mul_i32 s61, s60, s61                                    // 00000000FBC4: 923D3D3C
	s_add_u32 s82, s82, s61                                    // 00000000FBC8: 80523D52
	v_mul_lo_u32 v7, v4, s82                                   // 00000000FBCC: D2850007 0000A504
	v_add_u32_e32 v52, v6, v7                                  // 00000000FBD4: 68680F06
	v_readlane_b32 s82, v3, 6                                  // 00000000FBD8: D2890052 00010D03
	s_lshr_b32 s61, s82, 24                                    // 00000000FBE0: 8F3D9852
	s_and_b32 s82, s82, 0xffffff                               // 00000000FBE4: 8652FF52 00FFFFFF
	s_mul_i32 s82, s82, s71                                    // 00000000FBEC: 92524752
	s_mul_i32 s61, s60, s61                                    // 00000000FBF0: 923D3D3C
	s_add_u32 s82, s82, s61                                    // 00000000FBF4: 80523D52
	v_mul_lo_u32 v6, v5, s82                                   // 00000000FBF8: D2850006 0000A505
	v_readlane_b32 s82, v3, 7                                  // 00000000FC00: D2890052 00010F03
	s_lshr_b32 s61, s82, 24                                    // 00000000FC08: 8F3D9852
	s_and_b32 s82, s82, 0xffffff                               // 00000000FC0C: 8652FF52 00FFFFFF
	s_mul_i32 s82, s82, s71                                    // 00000000FC14: 92524752
	s_mul_i32 s61, s60, s61                                    // 00000000FC18: 923D3D3C
	s_add_u32 s82, s82, s61                                    // 00000000FC1C: 80523D52
	v_mul_lo_u32 v7, v4, s82                                   // 00000000FC20: D2850007 0000A504
	v_add_u32_e32 v53, v6, v7                                  // 00000000FC28: 686A0F06
	v_readlane_b32 s82, v3, 8                                  // 00000000FC2C: D2890052 00011103
	s_lshr_b32 s61, s82, 24                                    // 00000000FC34: 8F3D9852
	s_and_b32 s82, s82, 0xffffff                               // 00000000FC38: 8652FF52 00FFFFFF
	s_mul_i32 s82, s82, s71                                    // 00000000FC40: 92524752
	s_mul_i32 s61, s60, s61                                    // 00000000FC44: 923D3D3C
	s_add_u32 s82, s82, s61                                    // 00000000FC48: 80523D52
	v_mul_lo_u32 v6, v5, s82                                   // 00000000FC4C: D2850006 0000A505
	v_readlane_b32 s82, v3, 9                                  // 00000000FC54: D2890052 00011303
	s_lshr_b32 s61, s82, 24                                    // 00000000FC5C: 8F3D9852
	s_and_b32 s82, s82, 0xffffff                               // 00000000FC60: 8652FF52 00FFFFFF
	s_mul_i32 s82, s82, s71                                    // 00000000FC68: 92524752
	s_mul_i32 s61, s60, s61                                    // 00000000FC6C: 923D3D3C
	s_add_u32 s82, s82, s61                                    // 00000000FC70: 80523D52
	v_mul_lo_u32 v7, v4, s82                                   // 00000000FC74: D2850007 0000A504
	v_add_u32_e32 v54, v6, v7                                  // 00000000FC7C: 686C0F06
	v_readlane_b32 s82, v3, 10                                 // 00000000FC80: D2890052 00011503
	s_lshr_b32 s61, s82, 24                                    // 00000000FC88: 8F3D9852
	s_and_b32 s82, s82, 0xffffff                               // 00000000FC8C: 8652FF52 00FFFFFF
	s_mul_i32 s82, s82, s71                                    // 00000000FC94: 92524752
	s_mul_i32 s61, s60, s61                                    // 00000000FC98: 923D3D3C
	s_add_u32 s82, s82, s61                                    // 00000000FC9C: 80523D52
	v_mul_lo_u32 v6, v5, s82                                   // 00000000FCA0: D2850006 0000A505
	v_readlane_b32 s82, v3, 11                                 // 00000000FCA8: D2890052 00011703
	s_lshr_b32 s61, s82, 24                                    // 00000000FCB0: 8F3D9852
	s_and_b32 s82, s82, 0xffffff                               // 00000000FCB4: 8652FF52 00FFFFFF
	s_mul_i32 s82, s82, s71                                    // 00000000FCBC: 92524752
	s_mul_i32 s61, s60, s61                                    // 00000000FCC0: 923D3D3C
	s_add_u32 s82, s82, s61                                    // 00000000FCC4: 80523D52
	v_mul_lo_u32 v7, v4, s82                                   // 00000000FCC8: D2850007 0000A504
	v_add_u32_e32 v55, v6, v7                                  // 00000000FCD0: 686E0F06
	v_readlane_b32 s82, v3, 12                                 // 00000000FCD4: D2890052 00011903
	s_lshr_b32 s61, s82, 24                                    // 00000000FCDC: 8F3D9852
	s_and_b32 s82, s82, 0xffffff                               // 00000000FCE0: 8652FF52 00FFFFFF
	s_mul_i32 s82, s82, s71                                    // 00000000FCE8: 92524752
	s_mul_i32 s61, s60, s61                                    // 00000000FCEC: 923D3D3C
	s_add_u32 s82, s82, s61                                    // 00000000FCF0: 80523D52
	v_mul_lo_u32 v6, v5, s82                                   // 00000000FCF4: D2850006 0000A505
	v_readlane_b32 s82, v3, 13                                 // 00000000FCFC: D2890052 00011B03
	s_lshr_b32 s61, s82, 24                                    // 00000000FD04: 8F3D9852
	s_and_b32 s82, s82, 0xffffff                               // 00000000FD08: 8652FF52 00FFFFFF
	s_mul_i32 s82, s82, s71                                    // 00000000FD10: 92524752
	s_mul_i32 s61, s60, s61                                    // 00000000FD14: 923D3D3C
	s_add_u32 s82, s82, s61                                    // 00000000FD18: 80523D52
	v_mul_lo_u32 v7, v4, s82                                   // 00000000FD1C: D2850007 0000A504
	v_add_u32_e32 v56, v6, v7                                  // 00000000FD24: 68700F06
	v_readlane_b32 s82, v3, 14                                 // 00000000FD28: D2890052 00011D03
	s_lshr_b32 s61, s82, 24                                    // 00000000FD30: 8F3D9852
	s_and_b32 s82, s82, 0xffffff                               // 00000000FD34: 8652FF52 00FFFFFF
	s_mul_i32 s82, s82, s71                                    // 00000000FD3C: 92524752
	s_mul_i32 s61, s60, s61                                    // 00000000FD40: 923D3D3C
	s_add_u32 s82, s82, s61                                    // 00000000FD44: 80523D52
	v_mul_lo_u32 v6, v5, s82                                   // 00000000FD48: D2850006 0000A505
	v_readlane_b32 s82, v3, 15                                 // 00000000FD50: D2890052 00011F03
	s_lshr_b32 s61, s82, 24                                    // 00000000FD58: 8F3D9852
	s_and_b32 s82, s82, 0xffffff                               // 00000000FD5C: 8652FF52 00FFFFFF
	s_mul_i32 s82, s82, s71                                    // 00000000FD64: 92524752
	s_mul_i32 s61, s60, s61                                    // 00000000FD68: 923D3D3C
	s_add_u32 s82, s82, s61                                    // 00000000FD6C: 80523D52
	v_mul_lo_u32 v7, v4, s82                                   // 00000000FD70: D2850007 0000A504
	v_add_u32_e32 v57, v6, v7                                  // 00000000FD78: 68720F06
	v_readlane_b32 s82, v3, 16                                 // 00000000FD7C: D2890052 00012103
	s_lshr_b32 s61, s82, 24                                    // 00000000FD84: 8F3D9852
	s_and_b32 s82, s82, 0xffffff                               // 00000000FD88: 8652FF52 00FFFFFF
	s_mul_i32 s82, s82, s71                                    // 00000000FD90: 92524752
	s_mul_i32 s61, s60, s61                                    // 00000000FD94: 923D3D3C
	s_add_u32 s82, s82, s61                                    // 00000000FD98: 80523D52
	v_mul_lo_u32 v6, v5, s82                                   // 00000000FD9C: D2850006 0000A505
	v_readlane_b32 s82, v3, 17                                 // 00000000FDA4: D2890052 00012303
	s_lshr_b32 s61, s82, 24                                    // 00000000FDAC: 8F3D9852
	s_and_b32 s82, s82, 0xffffff                               // 00000000FDB0: 8652FF52 00FFFFFF
	s_mul_i32 s82, s82, s71                                    // 00000000FDB8: 92524752
	s_mul_i32 s61, s60, s61                                    // 00000000FDBC: 923D3D3C
	s_add_u32 s82, s82, s61                                    // 00000000FDC0: 80523D52
	v_mul_lo_u32 v7, v4, s82                                   // 00000000FDC4: D2850007 0000A504
	v_add_u32_e32 v58, v6, v7                                  // 00000000FDCC: 68740F06
	v_readlane_b32 s82, v3, 18                                 // 00000000FDD0: D2890052 00012503
	s_lshr_b32 s61, s82, 24                                    // 00000000FDD8: 8F3D9852
	s_and_b32 s82, s82, 0xffffff                               // 00000000FDDC: 8652FF52 00FFFFFF
	s_mul_i32 s82, s82, s71                                    // 00000000FDE4: 92524752
	s_mul_i32 s61, s60, s61                                    // 00000000FDE8: 923D3D3C
	s_add_u32 s82, s82, s61                                    // 00000000FDEC: 80523D52
	v_mul_lo_u32 v6, v5, s82                                   // 00000000FDF0: D2850006 0000A505
	v_readlane_b32 s82, v3, 19                                 // 00000000FDF8: D2890052 00012703
	s_lshr_b32 s61, s82, 24                                    // 00000000FE00: 8F3D9852
	s_and_b32 s82, s82, 0xffffff                               // 00000000FE04: 8652FF52 00FFFFFF
	s_mul_i32 s82, s82, s71                                    // 00000000FE0C: 92524752
	s_mul_i32 s61, s60, s61                                    // 00000000FE10: 923D3D3C
	s_add_u32 s82, s82, s61                                    // 00000000FE14: 80523D52
	v_mul_lo_u32 v7, v4, s82                                   // 00000000FE18: D2850007 0000A504
	v_add_u32_e32 v59, v6, v7                                  // 00000000FE20: 68760F06
	v_and_b32_e32 v4, 31, v0                                   // 00000000FE24: 2608009F
	v_lshrrev_b32_e32 v4, 1, v4                                // 00000000FE28: 20080881
	s_cmp_eq_u32 s88, 0                                        // 00000000FE2C: BF068058
	s_cselect_b32 s61, 2, 4                                    // 00000000FE30: 853D8482
	v_mul_lo_u32 v4, v4, s61                                   // 00000000FE34: D2850004 00007B04
	v_and_b32_e64 v5, v0, 1                                    // 00000000FE3C: D1130005 00010300
	v_add_u32_e32 v4, v4, v5                                   // 00000000FE44: 68080B04
	v_lshlrev_b32_e32 v4, 2, v4                                // 00000000FE48: 24080882
	v_add_u32_e32 v50, v50, v4                                 // 00000000FE4C: 68640932
	v_add_u32_e32 v51, v51, v4                                 // 00000000FE50: 68660933
	v_add_u32_e32 v52, v52, v4                                 // 00000000FE54: 68680934
	v_add_u32_e32 v53, v53, v4                                 // 00000000FE58: 686A0935
	v_add_u32_e32 v54, v54, v4                                 // 00000000FE5C: 686C0936
	v_add_u32_e32 v55, v55, v4                                 // 00000000FE60: 686E0937
	v_add_u32_e32 v56, v56, v4                                 // 00000000FE64: 68700938
	v_add_u32_e32 v57, v57, v4                                 // 00000000FE68: 68720939
	v_add_u32_e32 v58, v58, v4                                 // 00000000FE6C: 6874093A
	v_add_u32_e32 v59, v59, v4                                 // 00000000FE70: 6876093B
	s_waitcnt lgkmcnt(0)                                       // 00000000FE74: BF8CC07F
	s_barrier                                                  // 00000000FE78: BF8A0000
	ds_read_b32 v64, v21                                       // 00000000FE7C: D86C0000 40000015
	ds_read_b32 v65, v21 offset:64                             // 00000000FE84: D86C0040 41000015
	ds_read_b32 v66, v21 offset:2176                           // 00000000FE8C: D86C0880 42000015
	ds_read_b32 v67, v21 offset:2240                           // 00000000FE94: D86C08C0 43000015
	ds_read_b32 v68, v21 offset:4352                           // 00000000FE9C: D86C1100 44000015
	ds_read_b32 v69, v21 offset:4416                           // 00000000FEA4: D86C1140 45000015
	ds_read_b32 v70, v21 offset:6528                           // 00000000FEAC: D86C1980 46000015
	ds_read_b32 v71, v21 offset:6592                           // 00000000FEB4: D86C19C0 47000015
	ds_read_b32 v72, v21 offset:8704                           // 00000000FEBC: D86C2200 48000015
	ds_read_b32 v73, v21 offset:8768                           // 00000000FEC4: D86C2240 49000015
	ds_read_b32 v74, v21 offset:10880                          // 00000000FECC: D86C2A80 4A000015
	ds_read_b32 v75, v21 offset:10944                          // 00000000FED4: D86C2AC0 4B000015
	ds_read_b32 v76, v21 offset:13056                          // 00000000FEDC: D86C3300 4C000015
	ds_read_b32 v77, v21 offset:13120                          // 00000000FEE4: D86C3340 4D000015
	ds_read_b32 v78, v21 offset:15232                          // 00000000FEEC: D86C3B80 4E000015
	ds_read_b32 v79, v21 offset:15296                          // 00000000FEF4: D86C3BC0 4F000015
	ds_read_b32 v80, v21 offset:17408                          // 00000000FEFC: D86C4400 50000015
	ds_read_b32 v81, v21 offset:17472                          // 00000000FF04: D86C4440 51000015
	ds_read_b32 v82, v21 offset:19584                          // 00000000FF0C: D86C4C80 52000015
	ds_read_b32 v83, v21 offset:19648                          // 00000000FF14: D86C4CC0 53000015
	ds_read_b32 v84, v21 offset:21760                          // 00000000FF1C: D86C5500 54000015
	ds_read_b32 v85, v21 offset:21824                          // 00000000FF24: D86C5540 55000015
	ds_read_b32 v86, v21 offset:23936                          // 00000000FF2C: D86C5D80 56000015
	ds_read_b32 v87, v21 offset:24000                          // 00000000FF34: D86C5DC0 57000015
	ds_read_b32 v88, v21 offset:26112                          // 00000000FF3C: D86C6600 58000015
	ds_read_b32 v89, v21 offset:26176                          // 00000000FF44: D86C6640 59000015
	ds_read_b32 v90, v21 offset:28288                          // 00000000FF4C: D86C6E80 5A000015
	ds_read_b32 v91, v21 offset:28352                          // 00000000FF54: D86C6EC0 5B000015
	ds_read_b32 v92, v21 offset:30464                          // 00000000FF5C: D86C7700 5C000015
	ds_read_b32 v93, v21 offset:30528                          // 00000000FF64: D86C7740 5D000015
	ds_read_b32 v94, v21 offset:32640                          // 00000000FF6C: D86C7F80 5E000015
	ds_read_b32 v95, v21 offset:32704                          // 00000000FF74: D86C7FC0 5F000015
	ds_read_b32 v96, v21 offset:34816                          // 00000000FF7C: D86C8800 60000015
	ds_read_b32 v97, v21 offset:34880                          // 00000000FF84: D86C8840 61000015
	ds_read_b32 v98, v21 offset:36992                          // 00000000FF8C: D86C9080 62000015
	ds_read_b32 v99, v21 offset:37056                          // 00000000FF94: D86C90C0 63000015
	ds_read_b32 v100, v21 offset:39168                         // 00000000FF9C: D86C9900 64000015
	ds_read_b32 v101, v21 offset:39232                         // 00000000FFA4: D86C9940 65000015
	ds_read_b32 v102, v21 offset:41344                         // 00000000FFAC: D86CA180 66000015
	ds_read_b32 v103, v21 offset:41408                         // 00000000FFB4: D86CA1C0 67000015
	s_waitcnt lgkmcnt(0)                                       // 00000000FFBC: BF8CC07F
	s_mov_b32 s36, -1                                          // 00000000FFC0: BEA400C1
	s_mov_b32 s37, -1                                          // 00000000FFC4: BEA500C1
	v_mov_b32_e32 v7, 0                                        // 00000000FFC8: 7E0E0280
	s_or_b32 s9, s9, 0x40000                                   // 00000000FFCC: 8709FF09 00040000
	s_mov_b64 exec, s[36:37]                                   // 00000000FFD4: BEFE0124
	v_mov_b32_e32 v6, v50                                      // 00000000FFD8: 7E0C0332
	s_mov_b64 s[60:61], 0                                      // 00000000FFDC: BEBC0180
	v_readlane_b32 s82, v3, 0                                  // 00000000FFE0: D2890052 00010103
	s_and_b32 s82, s82, 0xffffff                               // 00000000FFE8: 8652FF52 00FFFFFF
	s_cmp_lt_u32 s82, s66                                      // 00000000FFF0: BF0A4252
	s_cselect_b32 s20, s36, s60                                // 00000000FFF4: 85143C24
	v_readlane_b32 s82, v3, 1                                  // 00000000FFF8: D2890052 00010303
	s_and_b32 s82, s82, 0xffffff                               // 000000010000: 8652FF52 00FFFFFF
	s_cmp_lt_u32 s82, s66                                      // 000000010008: BF0A4252
	s_cselect_b32 s21, s36, s60                                // 00000001000C: 85153C24
	s_mov_b64 exec, s[20:21]                                   // 000000010010: BEFE0114
	buffer_store_dword v64, v6, s[8:11], 0 offen               // 000000010014: E0701000 80024006
	buffer_store_dword v66, v6, s[8:11], 0 offen offset:128    // 00000001001C: E0701080 80024206
	buffer_store_dword v68, v6, s[8:11], 0 offen offset:256    // 000000010024: E0701100 80024406
	buffer_store_dword v70, v6, s[8:11], 0 offen offset:384    // 00000001002C: E0701180 80024606
	s_mov_b64 exec, s[36:37]                                   // 000000010034: BEFE0124
	v_mov_b32_e32 v6, v51                                      // 000000010038: 7E0C0333
	s_mov_b64 s[60:61], 0                                      // 00000001003C: BEBC0180
	v_readlane_b32 s82, v3, 2                                  // 000000010040: D2890052 00010503
	s_and_b32 s82, s82, 0xffffff                               // 000000010048: 8652FF52 00FFFFFF
	s_cmp_lt_u32 s82, s66                                      // 000000010050: BF0A4252
	s_cselect_b32 s20, s36, s60                                // 000000010054: 85143C24
	v_readlane_b32 s82, v3, 3                                  // 000000010058: D2890052 00010703
	s_and_b32 s82, s82, 0xffffff                               // 000000010060: 8652FF52 00FFFFFF
	s_cmp_lt_u32 s82, s66                                      // 000000010068: BF0A4252
	s_cselect_b32 s21, s36, s60                                // 00000001006C: 85153C24
	s_mov_b64 exec, s[20:21]                                   // 000000010070: BEFE0114
	buffer_store_dword v65, v6, s[8:11], 0 offen               // 000000010074: E0701000 80024106
	buffer_store_dword v67, v6, s[8:11], 0 offen offset:128    // 00000001007C: E0701080 80024306
	buffer_store_dword v69, v6, s[8:11], 0 offen offset:256    // 000000010084: E0701100 80024506
	buffer_store_dword v71, v6, s[8:11], 0 offen offset:384    // 00000001008C: E0701180 80024706
	s_mov_b64 exec, s[36:37]                                   // 000000010094: BEFE0124
	v_mov_b32_e32 v6, v52                                      // 000000010098: 7E0C0334
	s_mov_b64 s[60:61], 0                                      // 00000001009C: BEBC0180
	v_readlane_b32 s82, v3, 4                                  // 0000000100A0: D2890052 00010903
	s_and_b32 s82, s82, 0xffffff                               // 0000000100A8: 8652FF52 00FFFFFF
	s_cmp_lt_u32 s82, s66                                      // 0000000100B0: BF0A4252
	s_cselect_b32 s20, s36, s60                                // 0000000100B4: 85143C24
	v_readlane_b32 s82, v3, 5                                  // 0000000100B8: D2890052 00010B03
	s_and_b32 s82, s82, 0xffffff                               // 0000000100C0: 8652FF52 00FFFFFF
	s_cmp_lt_u32 s82, s66                                      // 0000000100C8: BF0A4252
	s_cselect_b32 s21, s36, s60                                // 0000000100CC: 85153C24
	s_mov_b64 exec, s[20:21]                                   // 0000000100D0: BEFE0114
	buffer_store_dword v72, v6, s[8:11], 0 offen               // 0000000100D4: E0701000 80024806
	buffer_store_dword v74, v6, s[8:11], 0 offen offset:128    // 0000000100DC: E0701080 80024A06
	buffer_store_dword v76, v6, s[8:11], 0 offen offset:256    // 0000000100E4: E0701100 80024C06
	buffer_store_dword v78, v6, s[8:11], 0 offen offset:384    // 0000000100EC: E0701180 80024E06
	s_mov_b64 exec, s[36:37]                                   // 0000000100F4: BEFE0124
	v_mov_b32_e32 v6, v53                                      // 0000000100F8: 7E0C0335
	s_mov_b64 s[60:61], 0                                      // 0000000100FC: BEBC0180
	v_readlane_b32 s82, v3, 6                                  // 000000010100: D2890052 00010D03
	s_and_b32 s82, s82, 0xffffff                               // 000000010108: 8652FF52 00FFFFFF
	s_cmp_lt_u32 s82, s66                                      // 000000010110: BF0A4252
	s_cselect_b32 s20, s36, s60                                // 000000010114: 85143C24
	v_readlane_b32 s82, v3, 7                                  // 000000010118: D2890052 00010F03
	s_and_b32 s82, s82, 0xffffff                               // 000000010120: 8652FF52 00FFFFFF
	s_cmp_lt_u32 s82, s66                                      // 000000010128: BF0A4252
	s_cselect_b32 s21, s36, s60                                // 00000001012C: 85153C24
	s_mov_b64 exec, s[20:21]                                   // 000000010130: BEFE0114
	buffer_store_dword v73, v6, s[8:11], 0 offen               // 000000010134: E0701000 80024906
	buffer_store_dword v75, v6, s[8:11], 0 offen offset:128    // 00000001013C: E0701080 80024B06
	buffer_store_dword v77, v6, s[8:11], 0 offen offset:256    // 000000010144: E0701100 80024D06
	buffer_store_dword v79, v6, s[8:11], 0 offen offset:384    // 00000001014C: E0701180 80024F06
	s_mov_b64 exec, s[36:37]                                   // 000000010154: BEFE0124
	v_mov_b32_e32 v6, v54                                      // 000000010158: 7E0C0336
	s_mov_b64 s[60:61], 0                                      // 00000001015C: BEBC0180
	v_readlane_b32 s82, v3, 8                                  // 000000010160: D2890052 00011103
	s_and_b32 s82, s82, 0xffffff                               // 000000010168: 8652FF52 00FFFFFF
	s_cmp_lt_u32 s82, s66                                      // 000000010170: BF0A4252
	s_cselect_b32 s20, s36, s60                                // 000000010174: 85143C24
	v_readlane_b32 s82, v3, 9                                  // 000000010178: D2890052 00011303
	s_and_b32 s82, s82, 0xffffff                               // 000000010180: 8652FF52 00FFFFFF
	s_cmp_lt_u32 s82, s66                                      // 000000010188: BF0A4252
	s_cselect_b32 s21, s36, s60                                // 00000001018C: 85153C24
	s_mov_b64 exec, s[20:21]                                   // 000000010190: BEFE0114
	buffer_store_dword v80, v6, s[8:11], 0 offen               // 000000010194: E0701000 80025006
	buffer_store_dword v82, v6, s[8:11], 0 offen offset:128    // 00000001019C: E0701080 80025206
	buffer_store_dword v84, v6, s[8:11], 0 offen offset:256    // 0000000101A4: E0701100 80025406
	buffer_store_dword v86, v6, s[8:11], 0 offen offset:384    // 0000000101AC: E0701180 80025606
	s_mov_b64 exec, s[36:37]                                   // 0000000101B4: BEFE0124
	v_mov_b32_e32 v6, v55                                      // 0000000101B8: 7E0C0337
	s_mov_b64 s[60:61], 0                                      // 0000000101BC: BEBC0180
	v_readlane_b32 s82, v3, 10                                 // 0000000101C0: D2890052 00011503
	s_and_b32 s82, s82, 0xffffff                               // 0000000101C8: 8652FF52 00FFFFFF
	s_cmp_lt_u32 s82, s66                                      // 0000000101D0: BF0A4252
	s_cselect_b32 s20, s36, s60                                // 0000000101D4: 85143C24
	v_readlane_b32 s82, v3, 11                                 // 0000000101D8: D2890052 00011703
	s_and_b32 s82, s82, 0xffffff                               // 0000000101E0: 8652FF52 00FFFFFF
	s_cmp_lt_u32 s82, s66                                      // 0000000101E8: BF0A4252
	s_cselect_b32 s21, s36, s60                                // 0000000101EC: 85153C24
	s_mov_b64 exec, s[20:21]                                   // 0000000101F0: BEFE0114
	buffer_store_dword v81, v6, s[8:11], 0 offen               // 0000000101F4: E0701000 80025106
	buffer_store_dword v83, v6, s[8:11], 0 offen offset:128    // 0000000101FC: E0701080 80025306
	buffer_store_dword v85, v6, s[8:11], 0 offen offset:256    // 000000010204: E0701100 80025506
	buffer_store_dword v87, v6, s[8:11], 0 offen offset:384    // 00000001020C: E0701180 80025706
	s_mov_b64 exec, s[36:37]                                   // 000000010214: BEFE0124
	v_mov_b32_e32 v6, v56                                      // 000000010218: 7E0C0338
	s_mov_b64 s[60:61], 0                                      // 00000001021C: BEBC0180
	v_readlane_b32 s82, v3, 12                                 // 000000010220: D2890052 00011903
	s_and_b32 s82, s82, 0xffffff                               // 000000010228: 8652FF52 00FFFFFF
	s_cmp_lt_u32 s82, s66                                      // 000000010230: BF0A4252
	s_cselect_b32 s20, s36, s60                                // 000000010234: 85143C24
	v_readlane_b32 s82, v3, 13                                 // 000000010238: D2890052 00011B03
	s_and_b32 s82, s82, 0xffffff                               // 000000010240: 8652FF52 00FFFFFF
	s_cmp_lt_u32 s82, s66                                      // 000000010248: BF0A4252
	s_cselect_b32 s21, s36, s60                                // 00000001024C: 85153C24
	s_mov_b64 exec, s[20:21]                                   // 000000010250: BEFE0114
	buffer_store_dword v88, v6, s[8:11], 0 offen               // 000000010254: E0701000 80025806
	buffer_store_dword v90, v6, s[8:11], 0 offen offset:128    // 00000001025C: E0701080 80025A06
	buffer_store_dword v92, v6, s[8:11], 0 offen offset:256    // 000000010264: E0701100 80025C06
	buffer_store_dword v94, v6, s[8:11], 0 offen offset:384    // 00000001026C: E0701180 80025E06
	s_mov_b64 exec, s[36:37]                                   // 000000010274: BEFE0124
	v_mov_b32_e32 v6, v57                                      // 000000010278: 7E0C0339
	s_mov_b64 s[60:61], 0                                      // 00000001027C: BEBC0180
	v_readlane_b32 s82, v3, 14                                 // 000000010280: D2890052 00011D03
	s_and_b32 s82, s82, 0xffffff                               // 000000010288: 8652FF52 00FFFFFF
	s_cmp_lt_u32 s82, s66                                      // 000000010290: BF0A4252
	s_cselect_b32 s20, s36, s60                                // 000000010294: 85143C24
	v_readlane_b32 s82, v3, 15                                 // 000000010298: D2890052 00011F03
	s_and_b32 s82, s82, 0xffffff                               // 0000000102A0: 8652FF52 00FFFFFF
	s_cmp_lt_u32 s82, s66                                      // 0000000102A8: BF0A4252
	s_cselect_b32 s21, s36, s60                                // 0000000102AC: 85153C24
	s_mov_b64 exec, s[20:21]                                   // 0000000102B0: BEFE0114
	buffer_store_dword v89, v6, s[8:11], 0 offen               // 0000000102B4: E0701000 80025906
	buffer_store_dword v91, v6, s[8:11], 0 offen offset:128    // 0000000102BC: E0701080 80025B06
	buffer_store_dword v93, v6, s[8:11], 0 offen offset:256    // 0000000102C4: E0701100 80025D06
	buffer_store_dword v95, v6, s[8:11], 0 offen offset:384    // 0000000102CC: E0701180 80025F06
	s_mov_b64 exec, s[36:37]                                   // 0000000102D4: BEFE0124
	v_mov_b32_e32 v6, v58                                      // 0000000102D8: 7E0C033A
	s_mov_b64 s[60:61], 0                                      // 0000000102DC: BEBC0180
	v_readlane_b32 s82, v3, 16                                 // 0000000102E0: D2890052 00012103
	s_and_b32 s82, s82, 0xffffff                               // 0000000102E8: 8652FF52 00FFFFFF
	s_cmp_lt_u32 s82, s66                                      // 0000000102F0: BF0A4252
	s_cselect_b32 s20, s36, s60                                // 0000000102F4: 85143C24
	v_readlane_b32 s82, v3, 17                                 // 0000000102F8: D2890052 00012303
	s_and_b32 s82, s82, 0xffffff                               // 000000010300: 8652FF52 00FFFFFF
	s_cmp_lt_u32 s82, s66                                      // 000000010308: BF0A4252
	s_cselect_b32 s21, s36, s60                                // 00000001030C: 85153C24
	s_mov_b64 exec, s[20:21]                                   // 000000010310: BEFE0114
	buffer_store_dword v96, v6, s[8:11], 0 offen               // 000000010314: E0701000 80026006
	buffer_store_dword v98, v6, s[8:11], 0 offen offset:128    // 00000001031C: E0701080 80026206
	buffer_store_dword v100, v6, s[8:11], 0 offen offset:256   // 000000010324: E0701100 80026406
	buffer_store_dword v102, v6, s[8:11], 0 offen offset:384   // 00000001032C: E0701180 80026606
	s_mov_b64 exec, s[36:37]                                   // 000000010334: BEFE0124
	v_mov_b32_e32 v6, v59                                      // 000000010338: 7E0C033B
	s_mov_b64 s[60:61], 0                                      // 00000001033C: BEBC0180
	v_readlane_b32 s82, v3, 18                                 // 000000010340: D2890052 00012503
	s_and_b32 s82, s82, 0xffffff                               // 000000010348: 8652FF52 00FFFFFF
	s_cmp_lt_u32 s82, s66                                      // 000000010350: BF0A4252
	s_cselect_b32 s20, s36, s60                                // 000000010354: 85143C24
	v_readlane_b32 s82, v3, 19                                 // 000000010358: D2890052 00012703
	s_and_b32 s82, s82, 0xffffff                               // 000000010360: 8652FF52 00FFFFFF
	s_cmp_lt_u32 s82, s66                                      // 000000010368: BF0A4252
	s_cselect_b32 s21, s36, s60                                // 00000001036C: 85153C24
	s_mov_b64 exec, s[20:21]                                   // 000000010370: BEFE0114
	buffer_store_dword v97, v6, s[8:11], 0 offen               // 000000010374: E0701000 80026106
	buffer_store_dword v99, v6, s[8:11], 0 offen offset:128    // 00000001037C: E0701080 80026306
	buffer_store_dword v101, v6, s[8:11], 0 offen offset:256   // 000000010384: E0701100 80026506
	buffer_store_dword v103, v6, s[8:11], 0 offen offset:384   // 00000001038C: E0701180 80026706
	s_mov_b64 exec, s[36:37]                                   // 000000010394: BEFE0124
	s_branch label_3D10                                        // 000000010398: BF8206A6

000000000001039c <label_366A>:
	ds_write_b64 v20, v[64:65]                                 // 00000001039C: D89A0000 00004014
	ds_write_b64 v20, v[68:69] offset:8704                     // 0000000103A4: D89A2200 00004414
	ds_write_b64 v20, v[72:73] offset:17408                    // 0000000103AC: D89A4400 00004814
	ds_write_b64 v20, v[76:77] offset:26112                    // 0000000103B4: D89A6600 00004C14
	ds_write_b64 v20, v[80:81] offset:34816                    // 0000000103BC: D89A8800 00005014
	ds_write_b64 v20, v[84:85] offset:2176                     // 0000000103C4: D89A0880 00005414
	ds_write_b64 v20, v[88:89] offset:10880                    // 0000000103CC: D89A2A80 00005814
	ds_write_b64 v20, v[92:93] offset:19584                    // 0000000103D4: D89A4C80 00005C14
	ds_write_b64 v20, v[96:97] offset:28288                    // 0000000103DC: D89A6E80 00006014
	ds_write_b64 v20, v[100:101] offset:36992                  // 0000000103E4: D89A9080 00006414
	ds_write_b64 v20, v[104:105] offset:4352                   // 0000000103EC: D89A1100 00006814
	ds_write_b64 v20, v[108:109] offset:13056                  // 0000000103F4: D89A3300 00006C14
	ds_write_b64 v20, v[112:113] offset:21760                  // 0000000103FC: D89A5500 00007014
	ds_write_b64 v20, v[116:117] offset:30464                  // 000000010404: D89A7700 00007414
	ds_write_b64 v20, v[120:121] offset:39168                  // 00000001040C: D89A9900 00007814
	ds_write_b64 v20, v[124:125] offset:6528                   // 000000010414: D89A1980 00007C14
	ds_write_b64 v20, v[128:129] offset:15232                  // 00000001041C: D89A3B80 00008014
	ds_write_b64 v20, v[132:133] offset:23936                  // 000000010424: D89A5D80 00008414
	ds_write_b64 v20, v[136:137] offset:32640                  // 00000001042C: D89A7F80 00008814
	ds_write_b64 v20, v[140:141] offset:41344                  // 000000010434: D89AA180 00008C14
	v_lshrrev_b32_e32 v4, 5, v0                                // 00000001043C: 20080085
	v_xor_b32_e32 v5, 1, v4                                    // 000000010440: 2A0A0881
	s_mul_i32 s60, s65, 2                                      // 000000010444: 923C8241
	s_cmp_eq_u32 s88, 0                                        // 000000010448: BF068058
	s_cselect_b32 s61, 1, 4                                    // 00000001044C: 853D8481
	s_mul_i32 s60, s61, s60                                    // 000000010450: 923C3C3D
	v_readlane_b32 s82, v3, 0                                  // 000000010454: D2890052 00010103
	s_lshr_b32 s61, s82, 24                                    // 00000001045C: 8F3D9852
	s_and_b32 s82, s82, 0xffffff                               // 000000010460: 8652FF52 00FFFFFF
	s_mul_i32 s82, s82, s71                                    // 000000010468: 92524752
	s_mul_i32 s61, s60, s61                                    // 00000001046C: 923D3D3C
	s_add_u32 s82, s82, s61                                    // 000000010470: 80523D52
	v_mul_lo_u32 v6, v5, s82                                   // 000000010474: D2850006 0000A505
	v_readlane_b32 s82, v3, 1                                  // 00000001047C: D2890052 00010303
	s_lshr_b32 s61, s82, 24                                    // 000000010484: 8F3D9852
	s_and_b32 s82, s82, 0xffffff                               // 000000010488: 8652FF52 00FFFFFF
	s_mul_i32 s82, s82, s71                                    // 000000010490: 92524752
	s_mul_i32 s61, s60, s61                                    // 000000010494: 923D3D3C
	s_add_u32 s82, s82, s61                                    // 000000010498: 80523D52
	v_mul_lo_u32 v7, v4, s82                                   // 00000001049C: D2850007 0000A504
	v_add_u32_e32 v50, v6, v7                                  // 0000000104A4: 68640F06
	v_readlane_b32 s82, v3, 2                                  // 0000000104A8: D2890052 00010503
	s_lshr_b32 s61, s82, 24                                    // 0000000104B0: 8F3D9852
	s_and_b32 s82, s82, 0xffffff                               // 0000000104B4: 8652FF52 00FFFFFF
	s_mul_i32 s82, s82, s71                                    // 0000000104BC: 92524752
	s_mul_i32 s61, s60, s61                                    // 0000000104C0: 923D3D3C
	s_add_u32 s82, s82, s61                                    // 0000000104C4: 80523D52
	v_mul_lo_u32 v6, v5, s82                                   // 0000000104C8: D2850006 0000A505
	v_readlane_b32 s82, v3, 3                                  // 0000000104D0: D2890052 00010703
	s_lshr_b32 s61, s82, 24                                    // 0000000104D8: 8F3D9852
	s_and_b32 s82, s82, 0xffffff                               // 0000000104DC: 8652FF52 00FFFFFF
	s_mul_i32 s82, s82, s71                                    // 0000000104E4: 92524752
	s_mul_i32 s61, s60, s61                                    // 0000000104E8: 923D3D3C
	s_add_u32 s82, s82, s61                                    // 0000000104EC: 80523D52
	v_mul_lo_u32 v7, v4, s82                                   // 0000000104F0: D2850007 0000A504
	v_add_u32_e32 v51, v6, v7                                  // 0000000104F8: 68660F06
	v_readlane_b32 s82, v3, 4                                  // 0000000104FC: D2890052 00010903
	s_lshr_b32 s61, s82, 24                                    // 000000010504: 8F3D9852
	s_and_b32 s82, s82, 0xffffff                               // 000000010508: 8652FF52 00FFFFFF
	s_mul_i32 s82, s82, s71                                    // 000000010510: 92524752
	s_mul_i32 s61, s60, s61                                    // 000000010514: 923D3D3C
	s_add_u32 s82, s82, s61                                    // 000000010518: 80523D52
	v_mul_lo_u32 v6, v5, s82                                   // 00000001051C: D2850006 0000A505
	v_readlane_b32 s82, v3, 5                                  // 000000010524: D2890052 00010B03
	s_lshr_b32 s61, s82, 24                                    // 00000001052C: 8F3D9852
	s_and_b32 s82, s82, 0xffffff                               // 000000010530: 8652FF52 00FFFFFF
	s_mul_i32 s82, s82, s71                                    // 000000010538: 92524752
	s_mul_i32 s61, s60, s61                                    // 00000001053C: 923D3D3C
	s_add_u32 s82, s82, s61                                    // 000000010540: 80523D52
	v_mul_lo_u32 v7, v4, s82                                   // 000000010544: D2850007 0000A504
	v_add_u32_e32 v52, v6, v7                                  // 00000001054C: 68680F06
	v_readlane_b32 s82, v3, 6                                  // 000000010550: D2890052 00010D03
	s_lshr_b32 s61, s82, 24                                    // 000000010558: 8F3D9852
	s_and_b32 s82, s82, 0xffffff                               // 00000001055C: 8652FF52 00FFFFFF
	s_mul_i32 s82, s82, s71                                    // 000000010564: 92524752
	s_mul_i32 s61, s60, s61                                    // 000000010568: 923D3D3C
	s_add_u32 s82, s82, s61                                    // 00000001056C: 80523D52
	v_mul_lo_u32 v6, v5, s82                                   // 000000010570: D2850006 0000A505
	v_readlane_b32 s82, v3, 7                                  // 000000010578: D2890052 00010F03
	s_lshr_b32 s61, s82, 24                                    // 000000010580: 8F3D9852
	s_and_b32 s82, s82, 0xffffff                               // 000000010584: 8652FF52 00FFFFFF
	s_mul_i32 s82, s82, s71                                    // 00000001058C: 92524752
	s_mul_i32 s61, s60, s61                                    // 000000010590: 923D3D3C
	s_add_u32 s82, s82, s61                                    // 000000010594: 80523D52
	v_mul_lo_u32 v7, v4, s82                                   // 000000010598: D2850007 0000A504
	v_add_u32_e32 v53, v6, v7                                  // 0000000105A0: 686A0F06
	v_readlane_b32 s82, v3, 8                                  // 0000000105A4: D2890052 00011103
	s_lshr_b32 s61, s82, 24                                    // 0000000105AC: 8F3D9852
	s_and_b32 s82, s82, 0xffffff                               // 0000000105B0: 8652FF52 00FFFFFF
	s_mul_i32 s82, s82, s71                                    // 0000000105B8: 92524752
	s_mul_i32 s61, s60, s61                                    // 0000000105BC: 923D3D3C
	s_add_u32 s82, s82, s61                                    // 0000000105C0: 80523D52
	v_mul_lo_u32 v6, v5, s82                                   // 0000000105C4: D2850006 0000A505
	v_readlane_b32 s82, v3, 9                                  // 0000000105CC: D2890052 00011303
	s_lshr_b32 s61, s82, 24                                    // 0000000105D4: 8F3D9852
	s_and_b32 s82, s82, 0xffffff                               // 0000000105D8: 8652FF52 00FFFFFF
	s_mul_i32 s82, s82, s71                                    // 0000000105E0: 92524752
	s_mul_i32 s61, s60, s61                                    // 0000000105E4: 923D3D3C
	s_add_u32 s82, s82, s61                                    // 0000000105E8: 80523D52
	v_mul_lo_u32 v7, v4, s82                                   // 0000000105EC: D2850007 0000A504
	v_add_u32_e32 v54, v6, v7                                  // 0000000105F4: 686C0F06
	v_readlane_b32 s82, v3, 10                                 // 0000000105F8: D2890052 00011503
	s_lshr_b32 s61, s82, 24                                    // 000000010600: 8F3D9852
	s_and_b32 s82, s82, 0xffffff                               // 000000010604: 8652FF52 00FFFFFF
	s_mul_i32 s82, s82, s71                                    // 00000001060C: 92524752
	s_mul_i32 s61, s60, s61                                    // 000000010610: 923D3D3C
	s_add_u32 s82, s82, s61                                    // 000000010614: 80523D52
	v_mul_lo_u32 v6, v5, s82                                   // 000000010618: D2850006 0000A505
	v_readlane_b32 s82, v3, 11                                 // 000000010620: D2890052 00011703
	s_lshr_b32 s61, s82, 24                                    // 000000010628: 8F3D9852
	s_and_b32 s82, s82, 0xffffff                               // 00000001062C: 8652FF52 00FFFFFF
	s_mul_i32 s82, s82, s71                                    // 000000010634: 92524752
	s_mul_i32 s61, s60, s61                                    // 000000010638: 923D3D3C
	s_add_u32 s82, s82, s61                                    // 00000001063C: 80523D52
	v_mul_lo_u32 v7, v4, s82                                   // 000000010640: D2850007 0000A504
	v_add_u32_e32 v55, v6, v7                                  // 000000010648: 686E0F06
	v_readlane_b32 s82, v3, 12                                 // 00000001064C: D2890052 00011903
	s_lshr_b32 s61, s82, 24                                    // 000000010654: 8F3D9852
	s_and_b32 s82, s82, 0xffffff                               // 000000010658: 8652FF52 00FFFFFF
	s_mul_i32 s82, s82, s71                                    // 000000010660: 92524752
	s_mul_i32 s61, s60, s61                                    // 000000010664: 923D3D3C
	s_add_u32 s82, s82, s61                                    // 000000010668: 80523D52
	v_mul_lo_u32 v6, v5, s82                                   // 00000001066C: D2850006 0000A505
	v_readlane_b32 s82, v3, 13                                 // 000000010674: D2890052 00011B03
	s_lshr_b32 s61, s82, 24                                    // 00000001067C: 8F3D9852
	s_and_b32 s82, s82, 0xffffff                               // 000000010680: 8652FF52 00FFFFFF
	s_mul_i32 s82, s82, s71                                    // 000000010688: 92524752
	s_mul_i32 s61, s60, s61                                    // 00000001068C: 923D3D3C
	s_add_u32 s82, s82, s61                                    // 000000010690: 80523D52
	v_mul_lo_u32 v7, v4, s82                                   // 000000010694: D2850007 0000A504
	v_add_u32_e32 v56, v6, v7                                  // 00000001069C: 68700F06
	v_readlane_b32 s82, v3, 14                                 // 0000000106A0: D2890052 00011D03
	s_lshr_b32 s61, s82, 24                                    // 0000000106A8: 8F3D9852
	s_and_b32 s82, s82, 0xffffff                               // 0000000106AC: 8652FF52 00FFFFFF
	s_mul_i32 s82, s82, s71                                    // 0000000106B4: 92524752
	s_mul_i32 s61, s60, s61                                    // 0000000106B8: 923D3D3C
	s_add_u32 s82, s82, s61                                    // 0000000106BC: 80523D52
	v_mul_lo_u32 v6, v5, s82                                   // 0000000106C0: D2850006 0000A505
	v_readlane_b32 s82, v3, 15                                 // 0000000106C8: D2890052 00011F03
	s_lshr_b32 s61, s82, 24                                    // 0000000106D0: 8F3D9852
	s_and_b32 s82, s82, 0xffffff                               // 0000000106D4: 8652FF52 00FFFFFF
	s_mul_i32 s82, s82, s71                                    // 0000000106DC: 92524752
	s_mul_i32 s61, s60, s61                                    // 0000000106E0: 923D3D3C
	s_add_u32 s82, s82, s61                                    // 0000000106E4: 80523D52
	v_mul_lo_u32 v7, v4, s82                                   // 0000000106E8: D2850007 0000A504
	v_add_u32_e32 v57, v6, v7                                  // 0000000106F0: 68720F06
	v_readlane_b32 s82, v3, 16                                 // 0000000106F4: D2890052 00012103
	s_lshr_b32 s61, s82, 24                                    // 0000000106FC: 8F3D9852
	s_and_b32 s82, s82, 0xffffff                               // 000000010700: 8652FF52 00FFFFFF
	s_mul_i32 s82, s82, s71                                    // 000000010708: 92524752
	s_mul_i32 s61, s60, s61                                    // 00000001070C: 923D3D3C
	s_add_u32 s82, s82, s61                                    // 000000010710: 80523D52
	v_mul_lo_u32 v6, v5, s82                                   // 000000010714: D2850006 0000A505
	v_readlane_b32 s82, v3, 17                                 // 00000001071C: D2890052 00012303
	s_lshr_b32 s61, s82, 24                                    // 000000010724: 8F3D9852
	s_and_b32 s82, s82, 0xffffff                               // 000000010728: 8652FF52 00FFFFFF
	s_mul_i32 s82, s82, s71                                    // 000000010730: 92524752
	s_mul_i32 s61, s60, s61                                    // 000000010734: 923D3D3C
	s_add_u32 s82, s82, s61                                    // 000000010738: 80523D52
	v_mul_lo_u32 v7, v4, s82                                   // 00000001073C: D2850007 0000A504
	v_add_u32_e32 v58, v6, v7                                  // 000000010744: 68740F06
	v_readlane_b32 s82, v3, 18                                 // 000000010748: D2890052 00012503
	s_lshr_b32 s61, s82, 24                                    // 000000010750: 8F3D9852
	s_and_b32 s82, s82, 0xffffff                               // 000000010754: 8652FF52 00FFFFFF
	s_mul_i32 s82, s82, s71                                    // 00000001075C: 92524752
	s_mul_i32 s61, s60, s61                                    // 000000010760: 923D3D3C
	s_add_u32 s82, s82, s61                                    // 000000010764: 80523D52
	v_mul_lo_u32 v6, v5, s82                                   // 000000010768: D2850006 0000A505
	v_readlane_b32 s82, v3, 19                                 // 000000010770: D2890052 00012703
	s_lshr_b32 s61, s82, 24                                    // 000000010778: 8F3D9852
	s_and_b32 s82, s82, 0xffffff                               // 00000001077C: 8652FF52 00FFFFFF
	s_mul_i32 s82, s82, s71                                    // 000000010784: 92524752
	s_mul_i32 s61, s60, s61                                    // 000000010788: 923D3D3C
	s_add_u32 s82, s82, s61                                    // 00000001078C: 80523D52
	v_mul_lo_u32 v7, v4, s82                                   // 000000010790: D2850007 0000A504
	v_add_u32_e32 v59, v6, v7                                  // 000000010798: 68760F06
	v_and_b32_e32 v4, 31, v0                                   // 00000001079C: 2608009F
	v_lshrrev_b32_e32 v4, 1, v4                                // 0000000107A0: 20080881
	s_cmp_eq_u32 s88, 0                                        // 0000000107A4: BF068058
	s_cselect_b32 s61, 2, 4                                    // 0000000107A8: 853D8482
	v_mul_lo_u32 v4, v4, s61                                   // 0000000107AC: D2850004 00007B04
	v_and_b32_e64 v5, v0, 1                                    // 0000000107B4: D1130005 00010300
	v_add_u32_e32 v4, v4, v5                                   // 0000000107BC: 68080B04
	v_lshlrev_b32_e32 v4, 2, v4                                // 0000000107C0: 24080882
	v_add_u32_e32 v50, v50, v4                                 // 0000000107C4: 68640932
	v_add_u32_e32 v51, v51, v4                                 // 0000000107C8: 68660933
	v_add_u32_e32 v52, v52, v4                                 // 0000000107CC: 68680934
	v_add_u32_e32 v53, v53, v4                                 // 0000000107D0: 686A0935
	v_add_u32_e32 v54, v54, v4                                 // 0000000107D4: 686C0936
	v_add_u32_e32 v55, v55, v4                                 // 0000000107D8: 686E0937
	v_add_u32_e32 v56, v56, v4                                 // 0000000107DC: 68700938
	v_add_u32_e32 v57, v57, v4                                 // 0000000107E0: 68720939
	v_add_u32_e32 v58, v58, v4                                 // 0000000107E4: 6874093A
	v_add_u32_e32 v59, v59, v4                                 // 0000000107E8: 6876093B
	s_waitcnt lgkmcnt(0)                                       // 0000000107EC: BF8CC07F
	s_barrier                                                  // 0000000107F0: BF8A0000
	ds_read_b32 v64, v21                                       // 0000000107F4: D86C0000 40000015
	ds_read_b32 v65, v21 offset:64                             // 0000000107FC: D86C0040 41000015
	ds_read_b32 v68, v21 offset:2176                           // 000000010804: D86C0880 44000015
	ds_read_b32 v69, v21 offset:2240                           // 00000001080C: D86C08C0 45000015
	ds_read_b32 v72, v21 offset:4352                           // 000000010814: D86C1100 48000015
	ds_read_b32 v73, v21 offset:4416                           // 00000001081C: D86C1140 49000015
	ds_read_b32 v76, v21 offset:6528                           // 000000010824: D86C1980 4C000015
	ds_read_b32 v77, v21 offset:6592                           // 00000001082C: D86C19C0 4D000015
	ds_read_b32 v80, v21 offset:8704                           // 000000010834: D86C2200 50000015
	ds_read_b32 v81, v21 offset:8768                           // 00000001083C: D86C2240 51000015
	ds_read_b32 v84, v21 offset:10880                          // 000000010844: D86C2A80 54000015
	ds_read_b32 v85, v21 offset:10944                          // 00000001084C: D86C2AC0 55000015
	ds_read_b32 v88, v21 offset:13056                          // 000000010854: D86C3300 58000015
	ds_read_b32 v89, v21 offset:13120                          // 00000001085C: D86C3340 59000015
	ds_read_b32 v92, v21 offset:15232                          // 000000010864: D86C3B80 5C000015
	ds_read_b32 v93, v21 offset:15296                          // 00000001086C: D86C3BC0 5D000015
	ds_read_b32 v96, v21 offset:17408                          // 000000010874: D86C4400 60000015
	ds_read_b32 v97, v21 offset:17472                          // 00000001087C: D86C4440 61000015
	ds_read_b32 v100, v21 offset:19584                         // 000000010884: D86C4C80 64000015
	ds_read_b32 v101, v21 offset:19648                         // 00000001088C: D86C4CC0 65000015
	ds_read_b32 v104, v21 offset:21760                         // 000000010894: D86C5500 68000015
	ds_read_b32 v105, v21 offset:21824                         // 00000001089C: D86C5540 69000015
	ds_read_b32 v108, v21 offset:23936                         // 0000000108A4: D86C5D80 6C000015
	ds_read_b32 v109, v21 offset:24000                         // 0000000108AC: D86C5DC0 6D000015
	ds_read_b32 v112, v21 offset:26112                         // 0000000108B4: D86C6600 70000015
	ds_read_b32 v113, v21 offset:26176                         // 0000000108BC: D86C6640 71000015
	ds_read_b32 v116, v21 offset:28288                         // 0000000108C4: D86C6E80 74000015
	ds_read_b32 v117, v21 offset:28352                         // 0000000108CC: D86C6EC0 75000015
	ds_read_b32 v120, v21 offset:30464                         // 0000000108D4: D86C7700 78000015
	ds_read_b32 v121, v21 offset:30528                         // 0000000108DC: D86C7740 79000015
	ds_read_b32 v124, v21 offset:32640                         // 0000000108E4: D86C7F80 7C000015
	ds_read_b32 v125, v21 offset:32704                         // 0000000108EC: D86C7FC0 7D000015
	ds_read_b32 v128, v21 offset:34816                         // 0000000108F4: D86C8800 80000015
	ds_read_b32 v129, v21 offset:34880                         // 0000000108FC: D86C8840 81000015
	ds_read_b32 v132, v21 offset:36992                         // 000000010904: D86C9080 84000015
	ds_read_b32 v133, v21 offset:37056                         // 00000001090C: D86C90C0 85000015
	ds_read_b32 v136, v21 offset:39168                         // 000000010914: D86C9900 88000015
	ds_read_b32 v137, v21 offset:39232                         // 00000001091C: D86C9940 89000015
	ds_read_b32 v140, v21 offset:41344                         // 000000010924: D86CA180 8C000015
	ds_read_b32 v141, v21 offset:41408                         // 00000001092C: D86CA1C0 8D000015
	s_waitcnt lgkmcnt(0)                                       // 000000010934: BF8CC07F
	s_mov_b32 s36, -1                                          // 000000010938: BEA400C1
	s_mov_b32 s37, -1                                          // 00000001093C: BEA500C1
	v_mov_b32_e32 v7, 0                                        // 000000010940: 7E0E0280
	s_mov_b64 exec, s[36:37]                                   // 000000010944: BEFE0124
	v_mov_b32_e32 v6, v50                                      // 000000010948: 7E0C0332
	s_mov_b64 s[60:61], 0                                      // 00000001094C: BEBC0180
	v_readlane_b32 s82, v3, 0                                  // 000000010950: D2890052 00010103
	s_and_b32 s82, s82, 0xffffff                               // 000000010958: 8652FF52 00FFFFFF
	s_cmp_lt_u32 s82, s66                                      // 000000010960: BF0A4252
	s_cselect_b32 s20, s36, s60                                // 000000010964: 85143C24
	v_readlane_b32 s82, v3, 1                                  // 000000010968: D2890052 00010303
	s_and_b32 s82, s82, 0xffffff                               // 000000010970: 8652FF52 00FFFFFF
	s_cmp_lt_u32 s82, s66                                      // 000000010978: BF0A4252
	s_cselect_b32 s21, s36, s60                                // 00000001097C: 85153C24
	s_mov_b64 exec, s[20:21]                                   // 000000010980: BEFE0114
	global_atomic_add_f32 v6, v64, s[8:9]                      // 000000010984: DD348000 00084006
	global_atomic_add_f32 v6, v68, s[8:9] offset:256           // 00000001098C: DD348100 00084406
	global_atomic_add_f32 v6, v72, s[8:9] offset:512           // 000000010994: DD348200 00084806
	global_atomic_add_f32 v6, v76, s[8:9] offset:768           // 00000001099C: DD348300 00084C06
	s_mov_b64 exec, s[36:37]                                   // 0000000109A4: BEFE0124
	v_mov_b32_e32 v6, v51                                      // 0000000109A8: 7E0C0333
	s_mov_b64 s[60:61], 0                                      // 0000000109AC: BEBC0180
	v_readlane_b32 s82, v3, 2                                  // 0000000109B0: D2890052 00010503
	s_and_b32 s82, s82, 0xffffff                               // 0000000109B8: 8652FF52 00FFFFFF
	s_cmp_lt_u32 s82, s66                                      // 0000000109C0: BF0A4252
	s_cselect_b32 s20, s36, s60                                // 0000000109C4: 85143C24
	v_readlane_b32 s82, v3, 3                                  // 0000000109C8: D2890052 00010703
	s_and_b32 s82, s82, 0xffffff                               // 0000000109D0: 8652FF52 00FFFFFF
	s_cmp_lt_u32 s82, s66                                      // 0000000109D8: BF0A4252
	s_cselect_b32 s21, s36, s60                                // 0000000109DC: 85153C24
	s_mov_b64 exec, s[20:21]                                   // 0000000109E0: BEFE0114
	global_atomic_add_f32 v6, v65, s[8:9]                      // 0000000109E4: DD348000 00084106
	global_atomic_add_f32 v6, v69, s[8:9] offset:256           // 0000000109EC: DD348100 00084506
	global_atomic_add_f32 v6, v73, s[8:9] offset:512           // 0000000109F4: DD348200 00084906
	global_atomic_add_f32 v6, v77, s[8:9] offset:768           // 0000000109FC: DD348300 00084D06
	s_mov_b64 exec, s[36:37]                                   // 000000010A04: BEFE0124
	v_mov_b32_e32 v6, v52                                      // 000000010A08: 7E0C0334
	s_mov_b64 s[60:61], 0                                      // 000000010A0C: BEBC0180
	v_readlane_b32 s82, v3, 4                                  // 000000010A10: D2890052 00010903
	s_and_b32 s82, s82, 0xffffff                               // 000000010A18: 8652FF52 00FFFFFF
	s_cmp_lt_u32 s82, s66                                      // 000000010A20: BF0A4252
	s_cselect_b32 s20, s36, s60                                // 000000010A24: 85143C24
	v_readlane_b32 s82, v3, 5                                  // 000000010A28: D2890052 00010B03
	s_and_b32 s82, s82, 0xffffff                               // 000000010A30: 8652FF52 00FFFFFF
	s_cmp_lt_u32 s82, s66                                      // 000000010A38: BF0A4252
	s_cselect_b32 s21, s36, s60                                // 000000010A3C: 85153C24
	s_mov_b64 exec, s[20:21]                                   // 000000010A40: BEFE0114
	global_atomic_add_f32 v6, v80, s[8:9]                      // 000000010A44: DD348000 00085006
	global_atomic_add_f32 v6, v84, s[8:9] offset:256           // 000000010A4C: DD348100 00085406
	global_atomic_add_f32 v6, v88, s[8:9] offset:512           // 000000010A54: DD348200 00085806
	global_atomic_add_f32 v6, v92, s[8:9] offset:768           // 000000010A5C: DD348300 00085C06
	s_mov_b64 exec, s[36:37]                                   // 000000010A64: BEFE0124
	v_mov_b32_e32 v6, v53                                      // 000000010A68: 7E0C0335
	s_mov_b64 s[60:61], 0                                      // 000000010A6C: BEBC0180
	v_readlane_b32 s82, v3, 6                                  // 000000010A70: D2890052 00010D03
	s_and_b32 s82, s82, 0xffffff                               // 000000010A78: 8652FF52 00FFFFFF
	s_cmp_lt_u32 s82, s66                                      // 000000010A80: BF0A4252
	s_cselect_b32 s20, s36, s60                                // 000000010A84: 85143C24
	v_readlane_b32 s82, v3, 7                                  // 000000010A88: D2890052 00010F03
	s_and_b32 s82, s82, 0xffffff                               // 000000010A90: 8652FF52 00FFFFFF
	s_cmp_lt_u32 s82, s66                                      // 000000010A98: BF0A4252
	s_cselect_b32 s21, s36, s60                                // 000000010A9C: 85153C24
	s_mov_b64 exec, s[20:21]                                   // 000000010AA0: BEFE0114
	global_atomic_add_f32 v6, v81, s[8:9]                      // 000000010AA4: DD348000 00085106
	global_atomic_add_f32 v6, v85, s[8:9] offset:256           // 000000010AAC: DD348100 00085506
	global_atomic_add_f32 v6, v89, s[8:9] offset:512           // 000000010AB4: DD348200 00085906
	global_atomic_add_f32 v6, v93, s[8:9] offset:768           // 000000010ABC: DD348300 00085D06
	s_mov_b64 exec, s[36:37]                                   // 000000010AC4: BEFE0124
	v_mov_b32_e32 v6, v54                                      // 000000010AC8: 7E0C0336
	s_mov_b64 s[60:61], 0                                      // 000000010ACC: BEBC0180
	v_readlane_b32 s82, v3, 8                                  // 000000010AD0: D2890052 00011103
	s_and_b32 s82, s82, 0xffffff                               // 000000010AD8: 8652FF52 00FFFFFF
	s_cmp_lt_u32 s82, s66                                      // 000000010AE0: BF0A4252
	s_cselect_b32 s20, s36, s60                                // 000000010AE4: 85143C24
	v_readlane_b32 s82, v3, 9                                  // 000000010AE8: D2890052 00011303
	s_and_b32 s82, s82, 0xffffff                               // 000000010AF0: 8652FF52 00FFFFFF
	s_cmp_lt_u32 s82, s66                                      // 000000010AF8: BF0A4252
	s_cselect_b32 s21, s36, s60                                // 000000010AFC: 85153C24
	s_mov_b64 exec, s[20:21]                                   // 000000010B00: BEFE0114
	global_atomic_add_f32 v6, v96, s[8:9]                      // 000000010B04: DD348000 00086006
	global_atomic_add_f32 v6, v100, s[8:9] offset:256          // 000000010B0C: DD348100 00086406
	global_atomic_add_f32 v6, v104, s[8:9] offset:512          // 000000010B14: DD348200 00086806
	global_atomic_add_f32 v6, v108, s[8:9] offset:768          // 000000010B1C: DD348300 00086C06
	s_mov_b64 exec, s[36:37]                                   // 000000010B24: BEFE0124
	v_mov_b32_e32 v6, v55                                      // 000000010B28: 7E0C0337
	s_mov_b64 s[60:61], 0                                      // 000000010B2C: BEBC0180
	v_readlane_b32 s82, v3, 10                                 // 000000010B30: D2890052 00011503
	s_and_b32 s82, s82, 0xffffff                               // 000000010B38: 8652FF52 00FFFFFF
	s_cmp_lt_u32 s82, s66                                      // 000000010B40: BF0A4252
	s_cselect_b32 s20, s36, s60                                // 000000010B44: 85143C24
	v_readlane_b32 s82, v3, 11                                 // 000000010B48: D2890052 00011703
	s_and_b32 s82, s82, 0xffffff                               // 000000010B50: 8652FF52 00FFFFFF
	s_cmp_lt_u32 s82, s66                                      // 000000010B58: BF0A4252
	s_cselect_b32 s21, s36, s60                                // 000000010B5C: 85153C24
	s_mov_b64 exec, s[20:21]                                   // 000000010B60: BEFE0114
	global_atomic_add_f32 v6, v97, s[8:9]                      // 000000010B64: DD348000 00086106
	global_atomic_add_f32 v6, v101, s[8:9] offset:256          // 000000010B6C: DD348100 00086506
	global_atomic_add_f32 v6, v105, s[8:9] offset:512          // 000000010B74: DD348200 00086906
	global_atomic_add_f32 v6, v109, s[8:9] offset:768          // 000000010B7C: DD348300 00086D06
	s_mov_b64 exec, s[36:37]                                   // 000000010B84: BEFE0124
	v_mov_b32_e32 v6, v56                                      // 000000010B88: 7E0C0338
	s_mov_b64 s[60:61], 0                                      // 000000010B8C: BEBC0180
	v_readlane_b32 s82, v3, 12                                 // 000000010B90: D2890052 00011903
	s_and_b32 s82, s82, 0xffffff                               // 000000010B98: 8652FF52 00FFFFFF
	s_cmp_lt_u32 s82, s66                                      // 000000010BA0: BF0A4252
	s_cselect_b32 s20, s36, s60                                // 000000010BA4: 85143C24
	v_readlane_b32 s82, v3, 13                                 // 000000010BA8: D2890052 00011B03
	s_and_b32 s82, s82, 0xffffff                               // 000000010BB0: 8652FF52 00FFFFFF
	s_cmp_lt_u32 s82, s66                                      // 000000010BB8: BF0A4252
	s_cselect_b32 s21, s36, s60                                // 000000010BBC: 85153C24
	s_mov_b64 exec, s[20:21]                                   // 000000010BC0: BEFE0114
	global_atomic_add_f32 v6, v112, s[8:9]                     // 000000010BC4: DD348000 00087006
	global_atomic_add_f32 v6, v116, s[8:9] offset:256          // 000000010BCC: DD348100 00087406
	global_atomic_add_f32 v6, v120, s[8:9] offset:512          // 000000010BD4: DD348200 00087806
	global_atomic_add_f32 v6, v124, s[8:9] offset:768          // 000000010BDC: DD348300 00087C06
	s_mov_b64 exec, s[36:37]                                   // 000000010BE4: BEFE0124
	v_mov_b32_e32 v6, v57                                      // 000000010BE8: 7E0C0339
	s_mov_b64 s[60:61], 0                                      // 000000010BEC: BEBC0180
	v_readlane_b32 s82, v3, 14                                 // 000000010BF0: D2890052 00011D03
	s_and_b32 s82, s82, 0xffffff                               // 000000010BF8: 8652FF52 00FFFFFF
	s_cmp_lt_u32 s82, s66                                      // 000000010C00: BF0A4252
	s_cselect_b32 s20, s36, s60                                // 000000010C04: 85143C24
	v_readlane_b32 s82, v3, 15                                 // 000000010C08: D2890052 00011F03
	s_and_b32 s82, s82, 0xffffff                               // 000000010C10: 8652FF52 00FFFFFF
	s_cmp_lt_u32 s82, s66                                      // 000000010C18: BF0A4252
	s_cselect_b32 s21, s36, s60                                // 000000010C1C: 85153C24
	s_mov_b64 exec, s[20:21]                                   // 000000010C20: BEFE0114
	global_atomic_add_f32 v6, v113, s[8:9]                     // 000000010C24: DD348000 00087106
	global_atomic_add_f32 v6, v117, s[8:9] offset:256          // 000000010C2C: DD348100 00087506
	global_atomic_add_f32 v6, v121, s[8:9] offset:512          // 000000010C34: DD348200 00087906
	global_atomic_add_f32 v6, v125, s[8:9] offset:768          // 000000010C3C: DD348300 00087D06
	s_mov_b64 exec, s[36:37]                                   // 000000010C44: BEFE0124
	v_mov_b32_e32 v6, v58                                      // 000000010C48: 7E0C033A
	s_mov_b64 s[60:61], 0                                      // 000000010C4C: BEBC0180
	v_readlane_b32 s82, v3, 16                                 // 000000010C50: D2890052 00012103
	s_and_b32 s82, s82, 0xffffff                               // 000000010C58: 8652FF52 00FFFFFF
	s_cmp_lt_u32 s82, s66                                      // 000000010C60: BF0A4252
	s_cselect_b32 s20, s36, s60                                // 000000010C64: 85143C24
	v_readlane_b32 s82, v3, 17                                 // 000000010C68: D2890052 00012303
	s_and_b32 s82, s82, 0xffffff                               // 000000010C70: 8652FF52 00FFFFFF
	s_cmp_lt_u32 s82, s66                                      // 000000010C78: BF0A4252
	s_cselect_b32 s21, s36, s60                                // 000000010C7C: 85153C24
	s_mov_b64 exec, s[20:21]                                   // 000000010C80: BEFE0114
	global_atomic_add_f32 v6, v128, s[8:9]                     // 000000010C84: DD348000 00088006
	global_atomic_add_f32 v6, v132, s[8:9] offset:256          // 000000010C8C: DD348100 00088406
	global_atomic_add_f32 v6, v136, s[8:9] offset:512          // 000000010C94: DD348200 00088806
	global_atomic_add_f32 v6, v140, s[8:9] offset:768          // 000000010C9C: DD348300 00088C06
	s_mov_b64 exec, s[36:37]                                   // 000000010CA4: BEFE0124
	v_mov_b32_e32 v6, v59                                      // 000000010CA8: 7E0C033B
	s_mov_b64 s[60:61], 0                                      // 000000010CAC: BEBC0180
	v_readlane_b32 s82, v3, 18                                 // 000000010CB0: D2890052 00012503
	s_and_b32 s82, s82, 0xffffff                               // 000000010CB8: 8652FF52 00FFFFFF
	s_cmp_lt_u32 s82, s66                                      // 000000010CC0: BF0A4252
	s_cselect_b32 s20, s36, s60                                // 000000010CC4: 85143C24
	v_readlane_b32 s82, v3, 19                                 // 000000010CC8: D2890052 00012703
	s_and_b32 s82, s82, 0xffffff                               // 000000010CD0: 8652FF52 00FFFFFF
	s_cmp_lt_u32 s82, s66                                      // 000000010CD8: BF0A4252
	s_cselect_b32 s21, s36, s60                                // 000000010CDC: 85153C24
	s_mov_b64 exec, s[20:21]                                   // 000000010CE0: BEFE0114
	global_atomic_add_f32 v6, v129, s[8:9]                     // 000000010CE4: DD348000 00088106
	global_atomic_add_f32 v6, v133, s[8:9] offset:256          // 000000010CEC: DD348100 00088506
	global_atomic_add_f32 v6, v137, s[8:9] offset:512          // 000000010CF4: DD348200 00088906
	global_atomic_add_f32 v6, v141, s[8:9] offset:768          // 000000010CFC: DD348300 00088D06
	s_mov_b64 exec, s[36:37]                                   // 000000010D04: BEFE0124
	ds_write_b64 v20, v[66:67]                                 // 000000010D08: D89A0000 00004214
	ds_write_b64 v20, v[70:71] offset:8704                     // 000000010D10: D89A2200 00004614
	ds_write_b64 v20, v[74:75] offset:17408                    // 000000010D18: D89A4400 00004A14
	ds_write_b64 v20, v[78:79] offset:26112                    // 000000010D20: D89A6600 00004E14
	ds_write_b64 v20, v[82:83] offset:34816                    // 000000010D28: D89A8800 00005214
	ds_write_b64 v20, v[86:87] offset:2176                     // 000000010D30: D89A0880 00005614
	ds_write_b64 v20, v[90:91] offset:10880                    // 000000010D38: D89A2A80 00005A14
	ds_write_b64 v20, v[94:95] offset:19584                    // 000000010D40: D89A4C80 00005E14
	ds_write_b64 v20, v[98:99] offset:28288                    // 000000010D48: D89A6E80 00006214
	ds_write_b64 v20, v[102:103] offset:36992                  // 000000010D50: D89A9080 00006614
	ds_write_b64 v20, v[106:107] offset:4352                   // 000000010D58: D89A1100 00006A14
	ds_write_b64 v20, v[110:111] offset:13056                  // 000000010D60: D89A3300 00006E14
	ds_write_b64 v20, v[114:115] offset:21760                  // 000000010D68: D89A5500 00007214
	ds_write_b64 v20, v[118:119] offset:30464                  // 000000010D70: D89A7700 00007614
	ds_write_b64 v20, v[122:123] offset:39168                  // 000000010D78: D89A9900 00007A14
	ds_write_b64 v20, v[126:127] offset:6528                   // 000000010D80: D89A1980 00007E14
	ds_write_b64 v20, v[130:131] offset:15232                  // 000000010D88: D89A3B80 00008214
	ds_write_b64 v20, v[134:135] offset:23936                  // 000000010D90: D89A5D80 00008614
	ds_write_b64 v20, v[138:139] offset:32640                  // 000000010D98: D89A7F80 00008A14
	ds_write_b64 v20, v[142:143] offset:41344                  // 000000010DA0: D89AA180 00008E14
	s_waitcnt lgkmcnt(0)                                       // 000000010DA8: BF8CC07F
	s_barrier                                                  // 000000010DAC: BF8A0000
	ds_read_b32 v66, v21                                       // 000000010DB0: D86C0000 42000015
	ds_read_b32 v67, v21 offset:64                             // 000000010DB8: D86C0040 43000015
	ds_read_b32 v70, v21 offset:2176                           // 000000010DC0: D86C0880 46000015
	ds_read_b32 v71, v21 offset:2240                           // 000000010DC8: D86C08C0 47000015
	ds_read_b32 v74, v21 offset:4352                           // 000000010DD0: D86C1100 4A000015
	ds_read_b32 v75, v21 offset:4416                           // 000000010DD8: D86C1140 4B000015
	ds_read_b32 v78, v21 offset:6528                           // 000000010DE0: D86C1980 4E000015
	ds_read_b32 v79, v21 offset:6592                           // 000000010DE8: D86C19C0 4F000015
	ds_read_b32 v82, v21 offset:8704                           // 000000010DF0: D86C2200 52000015
	ds_read_b32 v83, v21 offset:8768                           // 000000010DF8: D86C2240 53000015
	ds_read_b32 v86, v21 offset:10880                          // 000000010E00: D86C2A80 56000015
	ds_read_b32 v87, v21 offset:10944                          // 000000010E08: D86C2AC0 57000015
	ds_read_b32 v90, v21 offset:13056                          // 000000010E10: D86C3300 5A000015
	ds_read_b32 v91, v21 offset:13120                          // 000000010E18: D86C3340 5B000015
	ds_read_b32 v94, v21 offset:15232                          // 000000010E20: D86C3B80 5E000015
	ds_read_b32 v95, v21 offset:15296                          // 000000010E28: D86C3BC0 5F000015
	ds_read_b32 v98, v21 offset:17408                          // 000000010E30: D86C4400 62000015
	ds_read_b32 v99, v21 offset:17472                          // 000000010E38: D86C4440 63000015
	ds_read_b32 v102, v21 offset:19584                         // 000000010E40: D86C4C80 66000015
	ds_read_b32 v103, v21 offset:19648                         // 000000010E48: D86C4CC0 67000015
	ds_read_b32 v106, v21 offset:21760                         // 000000010E50: D86C5500 6A000015
	ds_read_b32 v107, v21 offset:21824                         // 000000010E58: D86C5540 6B000015
	ds_read_b32 v110, v21 offset:23936                         // 000000010E60: D86C5D80 6E000015
	ds_read_b32 v111, v21 offset:24000                         // 000000010E68: D86C5DC0 6F000015
	ds_read_b32 v114, v21 offset:26112                         // 000000010E70: D86C6600 72000015
	ds_read_b32 v115, v21 offset:26176                         // 000000010E78: D86C6640 73000015
	ds_read_b32 v118, v21 offset:28288                         // 000000010E80: D86C6E80 76000015
	ds_read_b32 v119, v21 offset:28352                         // 000000010E88: D86C6EC0 77000015
	ds_read_b32 v122, v21 offset:30464                         // 000000010E90: D86C7700 7A000015
	ds_read_b32 v123, v21 offset:30528                         // 000000010E98: D86C7740 7B000015
	ds_read_b32 v126, v21 offset:32640                         // 000000010EA0: D86C7F80 7E000015
	ds_read_b32 v127, v21 offset:32704                         // 000000010EA8: D86C7FC0 7F000015
	ds_read_b32 v130, v21 offset:34816                         // 000000010EB0: D86C8800 82000015
	ds_read_b32 v131, v21 offset:34880                         // 000000010EB8: D86C8840 83000015
	ds_read_b32 v134, v21 offset:36992                         // 000000010EC0: D86C9080 86000015
	ds_read_b32 v135, v21 offset:37056                         // 000000010EC8: D86C90C0 87000015
	ds_read_b32 v138, v21 offset:39168                         // 000000010ED0: D86C9900 8A000015
	ds_read_b32 v139, v21 offset:39232                         // 000000010ED8: D86C9940 8B000015
	ds_read_b32 v142, v21 offset:41344                         // 000000010EE0: D86CA180 8E000015
	ds_read_b32 v143, v21 offset:41408                         // 000000010EE8: D86CA1C0 8F000015
	s_waitcnt lgkmcnt(0)                                       // 000000010EF0: BF8CC07F
	v_mov_b32_e32 v7, 0                                        // 000000010EF4: 7E0E0280
	s_mov_b64 exec, s[36:37]                                   // 000000010EF8: BEFE0124
	v_mov_b32_e32 v6, v50                                      // 000000010EFC: 7E0C0332
	s_mov_b64 s[60:61], 0                                      // 000000010F00: BEBC0180
	v_readlane_b32 s82, v3, 0                                  // 000000010F04: D2890052 00010103
	s_and_b32 s82, s82, 0xffffff                               // 000000010F0C: 8652FF52 00FFFFFF
	s_cmp_lt_u32 s82, s66                                      // 000000010F14: BF0A4252
	s_cselect_b32 s20, s36, s60                                // 000000010F18: 85143C24
	v_readlane_b32 s82, v3, 1                                  // 000000010F1C: D2890052 00010303
	s_and_b32 s82, s82, 0xffffff                               // 000000010F24: 8652FF52 00FFFFFF
	s_cmp_lt_u32 s82, s66                                      // 000000010F2C: BF0A4252
	s_cselect_b32 s21, s36, s60                                // 000000010F30: 85153C24
	s_mov_b64 exec, s[20:21]                                   // 000000010F34: BEFE0114
	global_atomic_add_f32 v6, v66, s[8:9] offset:8             // 000000010F38: DD348008 00084206
	global_atomic_add_f32 v6, v70, s[8:9] offset:264           // 000000010F40: DD348108 00084606
	global_atomic_add_f32 v6, v74, s[8:9] offset:520           // 000000010F48: DD348208 00084A06
	global_atomic_add_f32 v6, v78, s[8:9] offset:776           // 000000010F50: DD348308 00084E06
	s_mov_b64 exec, s[36:37]                                   // 000000010F58: BEFE0124
	v_mov_b32_e32 v6, v51                                      // 000000010F5C: 7E0C0333
	s_mov_b64 s[60:61], 0                                      // 000000010F60: BEBC0180
	v_readlane_b32 s82, v3, 2                                  // 000000010F64: D2890052 00010503
	s_and_b32 s82, s82, 0xffffff                               // 000000010F6C: 8652FF52 00FFFFFF
	s_cmp_lt_u32 s82, s66                                      // 000000010F74: BF0A4252
	s_cselect_b32 s20, s36, s60                                // 000000010F78: 85143C24
	v_readlane_b32 s82, v3, 3                                  // 000000010F7C: D2890052 00010703
	s_and_b32 s82, s82, 0xffffff                               // 000000010F84: 8652FF52 00FFFFFF
	s_cmp_lt_u32 s82, s66                                      // 000000010F8C: BF0A4252
	s_cselect_b32 s21, s36, s60                                // 000000010F90: 85153C24
	s_mov_b64 exec, s[20:21]                                   // 000000010F94: BEFE0114
	global_atomic_add_f32 v6, v67, s[8:9] offset:8             // 000000010F98: DD348008 00084306
	global_atomic_add_f32 v6, v71, s[8:9] offset:264           // 000000010FA0: DD348108 00084706
	global_atomic_add_f32 v6, v75, s[8:9] offset:520           // 000000010FA8: DD348208 00084B06
	global_atomic_add_f32 v6, v79, s[8:9] offset:776           // 000000010FB0: DD348308 00084F06
	s_mov_b64 exec, s[36:37]                                   // 000000010FB8: BEFE0124
	v_mov_b32_e32 v6, v52                                      // 000000010FBC: 7E0C0334
	s_mov_b64 s[60:61], 0                                      // 000000010FC0: BEBC0180
	v_readlane_b32 s82, v3, 4                                  // 000000010FC4: D2890052 00010903
	s_and_b32 s82, s82, 0xffffff                               // 000000010FCC: 8652FF52 00FFFFFF
	s_cmp_lt_u32 s82, s66                                      // 000000010FD4: BF0A4252
	s_cselect_b32 s20, s36, s60                                // 000000010FD8: 85143C24
	v_readlane_b32 s82, v3, 5                                  // 000000010FDC: D2890052 00010B03
	s_and_b32 s82, s82, 0xffffff                               // 000000010FE4: 8652FF52 00FFFFFF
	s_cmp_lt_u32 s82, s66                                      // 000000010FEC: BF0A4252
	s_cselect_b32 s21, s36, s60                                // 000000010FF0: 85153C24
	s_mov_b64 exec, s[20:21]                                   // 000000010FF4: BEFE0114
	global_atomic_add_f32 v6, v82, s[8:9] offset:8             // 000000010FF8: DD348008 00085206
	global_atomic_add_f32 v6, v86, s[8:9] offset:264           // 000000011000: DD348108 00085606
	global_atomic_add_f32 v6, v90, s[8:9] offset:520           // 000000011008: DD348208 00085A06
	global_atomic_add_f32 v6, v94, s[8:9] offset:776           // 000000011010: DD348308 00085E06
	s_mov_b64 exec, s[36:37]                                   // 000000011018: BEFE0124
	v_mov_b32_e32 v6, v53                                      // 00000001101C: 7E0C0335
	s_mov_b64 s[60:61], 0                                      // 000000011020: BEBC0180
	v_readlane_b32 s82, v3, 6                                  // 000000011024: D2890052 00010D03
	s_and_b32 s82, s82, 0xffffff                               // 00000001102C: 8652FF52 00FFFFFF
	s_cmp_lt_u32 s82, s66                                      // 000000011034: BF0A4252
	s_cselect_b32 s20, s36, s60                                // 000000011038: 85143C24
	v_readlane_b32 s82, v3, 7                                  // 00000001103C: D2890052 00010F03
	s_and_b32 s82, s82, 0xffffff                               // 000000011044: 8652FF52 00FFFFFF
	s_cmp_lt_u32 s82, s66                                      // 00000001104C: BF0A4252
	s_cselect_b32 s21, s36, s60                                // 000000011050: 85153C24
	s_mov_b64 exec, s[20:21]                                   // 000000011054: BEFE0114
	global_atomic_add_f32 v6, v83, s[8:9] offset:8             // 000000011058: DD348008 00085306
	global_atomic_add_f32 v6, v87, s[8:9] offset:264           // 000000011060: DD348108 00085706
	global_atomic_add_f32 v6, v91, s[8:9] offset:520           // 000000011068: DD348208 00085B06
	global_atomic_add_f32 v6, v95, s[8:9] offset:776           // 000000011070: DD348308 00085F06
	s_mov_b64 exec, s[36:37]                                   // 000000011078: BEFE0124
	v_mov_b32_e32 v6, v54                                      // 00000001107C: 7E0C0336
	s_mov_b64 s[60:61], 0                                      // 000000011080: BEBC0180
	v_readlane_b32 s82, v3, 8                                  // 000000011084: D2890052 00011103
	s_and_b32 s82, s82, 0xffffff                               // 00000001108C: 8652FF52 00FFFFFF
	s_cmp_lt_u32 s82, s66                                      // 000000011094: BF0A4252
	s_cselect_b32 s20, s36, s60                                // 000000011098: 85143C24
	v_readlane_b32 s82, v3, 9                                  // 00000001109C: D2890052 00011303
	s_and_b32 s82, s82, 0xffffff                               // 0000000110A4: 8652FF52 00FFFFFF
	s_cmp_lt_u32 s82, s66                                      // 0000000110AC: BF0A4252
	s_cselect_b32 s21, s36, s60                                // 0000000110B0: 85153C24
	s_mov_b64 exec, s[20:21]                                   // 0000000110B4: BEFE0114
	global_atomic_add_f32 v6, v98, s[8:9] offset:8             // 0000000110B8: DD348008 00086206
	global_atomic_add_f32 v6, v102, s[8:9] offset:264          // 0000000110C0: DD348108 00086606
	global_atomic_add_f32 v6, v106, s[8:9] offset:520          // 0000000110C8: DD348208 00086A06
	global_atomic_add_f32 v6, v110, s[8:9] offset:776          // 0000000110D0: DD348308 00086E06
	s_mov_b64 exec, s[36:37]                                   // 0000000110D8: BEFE0124
	v_mov_b32_e32 v6, v55                                      // 0000000110DC: 7E0C0337
	s_mov_b64 s[60:61], 0                                      // 0000000110E0: BEBC0180
	v_readlane_b32 s82, v3, 10                                 // 0000000110E4: D2890052 00011503
	s_and_b32 s82, s82, 0xffffff                               // 0000000110EC: 8652FF52 00FFFFFF
	s_cmp_lt_u32 s82, s66                                      // 0000000110F4: BF0A4252
	s_cselect_b32 s20, s36, s60                                // 0000000110F8: 85143C24
	v_readlane_b32 s82, v3, 11                                 // 0000000110FC: D2890052 00011703
	s_and_b32 s82, s82, 0xffffff                               // 000000011104: 8652FF52 00FFFFFF
	s_cmp_lt_u32 s82, s66                                      // 00000001110C: BF0A4252
	s_cselect_b32 s21, s36, s60                                // 000000011110: 85153C24
	s_mov_b64 exec, s[20:21]                                   // 000000011114: BEFE0114
	global_atomic_add_f32 v6, v99, s[8:9] offset:8             // 000000011118: DD348008 00086306
	global_atomic_add_f32 v6, v103, s[8:9] offset:264          // 000000011120: DD348108 00086706
	global_atomic_add_f32 v6, v107, s[8:9] offset:520          // 000000011128: DD348208 00086B06
	global_atomic_add_f32 v6, v111, s[8:9] offset:776          // 000000011130: DD348308 00086F06
	s_mov_b64 exec, s[36:37]                                   // 000000011138: BEFE0124
	v_mov_b32_e32 v6, v56                                      // 00000001113C: 7E0C0338
	s_mov_b64 s[60:61], 0                                      // 000000011140: BEBC0180
	v_readlane_b32 s82, v3, 12                                 // 000000011144: D2890052 00011903
	s_and_b32 s82, s82, 0xffffff                               // 00000001114C: 8652FF52 00FFFFFF
	s_cmp_lt_u32 s82, s66                                      // 000000011154: BF0A4252
	s_cselect_b32 s20, s36, s60                                // 000000011158: 85143C24
	v_readlane_b32 s82, v3, 13                                 // 00000001115C: D2890052 00011B03
	s_and_b32 s82, s82, 0xffffff                               // 000000011164: 8652FF52 00FFFFFF
	s_cmp_lt_u32 s82, s66                                      // 00000001116C: BF0A4252
	s_cselect_b32 s21, s36, s60                                // 000000011170: 85153C24
	s_mov_b64 exec, s[20:21]                                   // 000000011174: BEFE0114
	global_atomic_add_f32 v6, v114, s[8:9] offset:8            // 000000011178: DD348008 00087206
	global_atomic_add_f32 v6, v118, s[8:9] offset:264          // 000000011180: DD348108 00087606
	global_atomic_add_f32 v6, v122, s[8:9] offset:520          // 000000011188: DD348208 00087A06
	global_atomic_add_f32 v6, v126, s[8:9] offset:776          // 000000011190: DD348308 00087E06
	s_mov_b64 exec, s[36:37]                                   // 000000011198: BEFE0124
	v_mov_b32_e32 v6, v57                                      // 00000001119C: 7E0C0339
	s_mov_b64 s[60:61], 0                                      // 0000000111A0: BEBC0180
	v_readlane_b32 s82, v3, 14                                 // 0000000111A4: D2890052 00011D03
	s_and_b32 s82, s82, 0xffffff                               // 0000000111AC: 8652FF52 00FFFFFF
	s_cmp_lt_u32 s82, s66                                      // 0000000111B4: BF0A4252
	s_cselect_b32 s20, s36, s60                                // 0000000111B8: 85143C24
	v_readlane_b32 s82, v3, 15                                 // 0000000111BC: D2890052 00011F03
	s_and_b32 s82, s82, 0xffffff                               // 0000000111C4: 8652FF52 00FFFFFF
	s_cmp_lt_u32 s82, s66                                      // 0000000111CC: BF0A4252
	s_cselect_b32 s21, s36, s60                                // 0000000111D0: 85153C24
	s_mov_b64 exec, s[20:21]                                   // 0000000111D4: BEFE0114
	global_atomic_add_f32 v6, v115, s[8:9] offset:8            // 0000000111D8: DD348008 00087306
	global_atomic_add_f32 v6, v119, s[8:9] offset:264          // 0000000111E0: DD348108 00087706
	global_atomic_add_f32 v6, v123, s[8:9] offset:520          // 0000000111E8: DD348208 00087B06
	global_atomic_add_f32 v6, v127, s[8:9] offset:776          // 0000000111F0: DD348308 00087F06
	s_mov_b64 exec, s[36:37]                                   // 0000000111F8: BEFE0124
	v_mov_b32_e32 v6, v58                                      // 0000000111FC: 7E0C033A
	s_mov_b64 s[60:61], 0                                      // 000000011200: BEBC0180
	v_readlane_b32 s82, v3, 16                                 // 000000011204: D2890052 00012103
	s_and_b32 s82, s82, 0xffffff                               // 00000001120C: 8652FF52 00FFFFFF
	s_cmp_lt_u32 s82, s66                                      // 000000011214: BF0A4252
	s_cselect_b32 s20, s36, s60                                // 000000011218: 85143C24
	v_readlane_b32 s82, v3, 17                                 // 00000001121C: D2890052 00012303
	s_and_b32 s82, s82, 0xffffff                               // 000000011224: 8652FF52 00FFFFFF
	s_cmp_lt_u32 s82, s66                                      // 00000001122C: BF0A4252
	s_cselect_b32 s21, s36, s60                                // 000000011230: 85153C24
	s_mov_b64 exec, s[20:21]                                   // 000000011234: BEFE0114
	global_atomic_add_f32 v6, v130, s[8:9] offset:8            // 000000011238: DD348008 00088206
	global_atomic_add_f32 v6, v134, s[8:9] offset:264          // 000000011240: DD348108 00088606
	global_atomic_add_f32 v6, v138, s[8:9] offset:520          // 000000011248: DD348208 00088A06
	global_atomic_add_f32 v6, v142, s[8:9] offset:776          // 000000011250: DD348308 00088E06
	s_mov_b64 exec, s[36:37]                                   // 000000011258: BEFE0124
	v_mov_b32_e32 v6, v59                                      // 00000001125C: 7E0C033B
	s_mov_b64 s[60:61], 0                                      // 000000011260: BEBC0180
	v_readlane_b32 s82, v3, 18                                 // 000000011264: D2890052 00012503
	s_and_b32 s82, s82, 0xffffff                               // 00000001126C: 8652FF52 00FFFFFF
	s_cmp_lt_u32 s82, s66                                      // 000000011274: BF0A4252
	s_cselect_b32 s20, s36, s60                                // 000000011278: 85143C24
	v_readlane_b32 s82, v3, 19                                 // 00000001127C: D2890052 00012703
	s_and_b32 s82, s82, 0xffffff                               // 000000011284: 8652FF52 00FFFFFF
	s_cmp_lt_u32 s82, s66                                      // 00000001128C: BF0A4252
	s_cselect_b32 s21, s36, s60                                // 000000011290: 85153C24
	s_mov_b64 exec, s[20:21]                                   // 000000011294: BEFE0114
	global_atomic_add_f32 v6, v131, s[8:9] offset:8            // 000000011298: DD348008 00088306
	global_atomic_add_f32 v6, v135, s[8:9] offset:264          // 0000000112A0: DD348108 00088706
	global_atomic_add_f32 v6, v139, s[8:9] offset:520          // 0000000112A8: DD348208 00088B06
	global_atomic_add_f32 v6, v143, s[8:9] offset:776          // 0000000112B0: DD348308 00088F06
	s_mov_b64 exec, s[36:37]                                   // 0000000112B8: BEFE0124
	ds_write_b64 v20, v[144:145]                               // 0000000112BC: D89A0000 00009014
	ds_write_b64 v20, v[148:149] offset:8704                   // 0000000112C4: D89A2200 00009414
	ds_write_b64 v20, v[152:153] offset:17408                  // 0000000112CC: D89A4400 00009814
	ds_write_b64 v20, v[156:157] offset:26112                  // 0000000112D4: D89A6600 00009C14
	ds_write_b64 v20, v[160:161] offset:34816                  // 0000000112DC: D89A8800 0000A014
	ds_write_b64 v20, v[164:165] offset:2176                   // 0000000112E4: D89A0880 0000A414
	ds_write_b64 v20, v[168:169] offset:10880                  // 0000000112EC: D89A2A80 0000A814
	ds_write_b64 v20, v[172:173] offset:19584                  // 0000000112F4: D89A4C80 0000AC14
	ds_write_b64 v20, v[176:177] offset:28288                  // 0000000112FC: D89A6E80 0000B014
	ds_write_b64 v20, v[180:181] offset:36992                  // 000000011304: D89A9080 0000B414
	ds_write_b64 v20, v[184:185] offset:4352                   // 00000001130C: D89A1100 0000B814
	ds_write_b64 v20, v[188:189] offset:13056                  // 000000011314: D89A3300 0000BC14
	ds_write_b64 v20, v[192:193] offset:21760                  // 00000001131C: D89A5500 0000C014
	ds_write_b64 v20, v[196:197] offset:30464                  // 000000011324: D89A7700 0000C414
	ds_write_b64 v20, v[200:201] offset:39168                  // 00000001132C: D89A9900 0000C814
	ds_write_b64 v20, v[204:205] offset:6528                   // 000000011334: D89A1980 0000CC14
	ds_write_b64 v20, v[208:209] offset:15232                  // 00000001133C: D89A3B80 0000D014
	ds_write_b64 v20, v[212:213] offset:23936                  // 000000011344: D89A5D80 0000D414
	ds_write_b64 v20, v[216:217] offset:32640                  // 00000001134C: D89A7F80 0000D814
	ds_write_b64 v20, v[220:221] offset:41344                  // 000000011354: D89AA180 0000DC14
	s_waitcnt lgkmcnt(0)                                       // 00000001135C: BF8CC07F
	s_barrier                                                  // 000000011360: BF8A0000
	ds_read_b32 v144, v21                                      // 000000011364: D86C0000 90000015
	ds_read_b32 v145, v21 offset:64                            // 00000001136C: D86C0040 91000015
	ds_read_b32 v148, v21 offset:2176                          // 000000011374: D86C0880 94000015
	ds_read_b32 v149, v21 offset:2240                          // 00000001137C: D86C08C0 95000015
	ds_read_b32 v152, v21 offset:4352                          // 000000011384: D86C1100 98000015
	ds_read_b32 v153, v21 offset:4416                          // 00000001138C: D86C1140 99000015
	ds_read_b32 v156, v21 offset:6528                          // 000000011394: D86C1980 9C000015
	ds_read_b32 v157, v21 offset:6592                          // 00000001139C: D86C19C0 9D000015
	ds_read_b32 v160, v21 offset:8704                          // 0000000113A4: D86C2200 A0000015
	ds_read_b32 v161, v21 offset:8768                          // 0000000113AC: D86C2240 A1000015
	ds_read_b32 v164, v21 offset:10880                         // 0000000113B4: D86C2A80 A4000015
	ds_read_b32 v165, v21 offset:10944                         // 0000000113BC: D86C2AC0 A5000015
	ds_read_b32 v168, v21 offset:13056                         // 0000000113C4: D86C3300 A8000015
	ds_read_b32 v169, v21 offset:13120                         // 0000000113CC: D86C3340 A9000015
	ds_read_b32 v172, v21 offset:15232                         // 0000000113D4: D86C3B80 AC000015
	ds_read_b32 v173, v21 offset:15296                         // 0000000113DC: D86C3BC0 AD000015
	ds_read_b32 v176, v21 offset:17408                         // 0000000113E4: D86C4400 B0000015
	ds_read_b32 v177, v21 offset:17472                         // 0000000113EC: D86C4440 B1000015
	ds_read_b32 v180, v21 offset:19584                         // 0000000113F4: D86C4C80 B4000015
	ds_read_b32 v181, v21 offset:19648                         // 0000000113FC: D86C4CC0 B5000015
	ds_read_b32 v184, v21 offset:21760                         // 000000011404: D86C5500 B8000015
	ds_read_b32 v185, v21 offset:21824                         // 00000001140C: D86C5540 B9000015
	ds_read_b32 v188, v21 offset:23936                         // 000000011414: D86C5D80 BC000015
	ds_read_b32 v189, v21 offset:24000                         // 00000001141C: D86C5DC0 BD000015
	ds_read_b32 v192, v21 offset:26112                         // 000000011424: D86C6600 C0000015
	ds_read_b32 v193, v21 offset:26176                         // 00000001142C: D86C6640 C1000015
	ds_read_b32 v196, v21 offset:28288                         // 000000011434: D86C6E80 C4000015
	ds_read_b32 v197, v21 offset:28352                         // 00000001143C: D86C6EC0 C5000015
	ds_read_b32 v200, v21 offset:30464                         // 000000011444: D86C7700 C8000015
	ds_read_b32 v201, v21 offset:30528                         // 00000001144C: D86C7740 C9000015
	ds_read_b32 v204, v21 offset:32640                         // 000000011454: D86C7F80 CC000015
	ds_read_b32 v205, v21 offset:32704                         // 00000001145C: D86C7FC0 CD000015
	ds_read_b32 v208, v21 offset:34816                         // 000000011464: D86C8800 D0000015
	ds_read_b32 v209, v21 offset:34880                         // 00000001146C: D86C8840 D1000015
	ds_read_b32 v212, v21 offset:36992                         // 000000011474: D86C9080 D4000015
	ds_read_b32 v213, v21 offset:37056                         // 00000001147C: D86C90C0 D5000015
	ds_read_b32 v216, v21 offset:39168                         // 000000011484: D86C9900 D8000015
	ds_read_b32 v217, v21 offset:39232                         // 00000001148C: D86C9940 D9000015
	ds_read_b32 v220, v21 offset:41344                         // 000000011494: D86CA180 DC000015
	ds_read_b32 v221, v21 offset:41408                         // 00000001149C: D86CA1C0 DD000015
	s_mul_i32 s60, s65, 4                                      // 0000000114A4: 923C8441
	s_add_u32 s8, s60, s8                                      // 0000000114A8: 8008083C
	s_addc_u32 s9, 0, s9                                       // 0000000114AC: 82090980
	s_waitcnt lgkmcnt(0)                                       // 0000000114B0: BF8CC07F
	v_mov_b32_e32 v7, 0                                        // 0000000114B4: 7E0E0280
	s_mov_b64 exec, s[36:37]                                   // 0000000114B8: BEFE0124
	v_mov_b32_e32 v6, v50                                      // 0000000114BC: 7E0C0332
	s_mov_b64 s[60:61], 0                                      // 0000000114C0: BEBC0180
	v_readlane_b32 s82, v3, 0                                  // 0000000114C4: D2890052 00010103
	s_and_b32 s82, s82, 0xffffff                               // 0000000114CC: 8652FF52 00FFFFFF
	s_cmp_lt_u32 s82, s66                                      // 0000000114D4: BF0A4252
	s_cselect_b32 s20, s36, s60                                // 0000000114D8: 85143C24
	v_readlane_b32 s82, v3, 1                                  // 0000000114DC: D2890052 00010303
	s_and_b32 s82, s82, 0xffffff                               // 0000000114E4: 8652FF52 00FFFFFF
	s_cmp_lt_u32 s82, s66                                      // 0000000114EC: BF0A4252
	s_cselect_b32 s21, s36, s60                                // 0000000114F0: 85153C24
	s_mov_b64 exec, s[20:21]                                   // 0000000114F4: BEFE0114
	global_atomic_add_f32 v6, v144, s[8:9]                     // 0000000114F8: DD348000 00089006
	global_atomic_add_f32 v6, v148, s[8:9] offset:256          // 000000011500: DD348100 00089406
	global_atomic_add_f32 v6, v152, s[8:9] offset:512          // 000000011508: DD348200 00089806
	global_atomic_add_f32 v6, v156, s[8:9] offset:768          // 000000011510: DD348300 00089C06
	s_mov_b64 exec, s[36:37]                                   // 000000011518: BEFE0124
	v_mov_b32_e32 v6, v51                                      // 00000001151C: 7E0C0333
	s_mov_b64 s[60:61], 0                                      // 000000011520: BEBC0180
	v_readlane_b32 s82, v3, 2                                  // 000000011524: D2890052 00010503
	s_and_b32 s82, s82, 0xffffff                               // 00000001152C: 8652FF52 00FFFFFF
	s_cmp_lt_u32 s82, s66                                      // 000000011534: BF0A4252
	s_cselect_b32 s20, s36, s60                                // 000000011538: 85143C24
	v_readlane_b32 s82, v3, 3                                  // 00000001153C: D2890052 00010703
	s_and_b32 s82, s82, 0xffffff                               // 000000011544: 8652FF52 00FFFFFF
	s_cmp_lt_u32 s82, s66                                      // 00000001154C: BF0A4252
	s_cselect_b32 s21, s36, s60                                // 000000011550: 85153C24
	s_mov_b64 exec, s[20:21]                                   // 000000011554: BEFE0114
	global_atomic_add_f32 v6, v145, s[8:9]                     // 000000011558: DD348000 00089106
	global_atomic_add_f32 v6, v149, s[8:9] offset:256          // 000000011560: DD348100 00089506
	global_atomic_add_f32 v6, v153, s[8:9] offset:512          // 000000011568: DD348200 00089906
	global_atomic_add_f32 v6, v157, s[8:9] offset:768          // 000000011570: DD348300 00089D06
	s_mov_b64 exec, s[36:37]                                   // 000000011578: BEFE0124
	v_mov_b32_e32 v6, v52                                      // 00000001157C: 7E0C0334
	s_mov_b64 s[60:61], 0                                      // 000000011580: BEBC0180
	v_readlane_b32 s82, v3, 4                                  // 000000011584: D2890052 00010903
	s_and_b32 s82, s82, 0xffffff                               // 00000001158C: 8652FF52 00FFFFFF
	s_cmp_lt_u32 s82, s66                                      // 000000011594: BF0A4252
	s_cselect_b32 s20, s36, s60                                // 000000011598: 85143C24
	v_readlane_b32 s82, v3, 5                                  // 00000001159C: D2890052 00010B03
	s_and_b32 s82, s82, 0xffffff                               // 0000000115A4: 8652FF52 00FFFFFF
	s_cmp_lt_u32 s82, s66                                      // 0000000115AC: BF0A4252
	s_cselect_b32 s21, s36, s60                                // 0000000115B0: 85153C24
	s_mov_b64 exec, s[20:21]                                   // 0000000115B4: BEFE0114
	global_atomic_add_f32 v6, v160, s[8:9]                     // 0000000115B8: DD348000 0008A006
	global_atomic_add_f32 v6, v164, s[8:9] offset:256          // 0000000115C0: DD348100 0008A406
	global_atomic_add_f32 v6, v168, s[8:9] offset:512          // 0000000115C8: DD348200 0008A806
	global_atomic_add_f32 v6, v172, s[8:9] offset:768          // 0000000115D0: DD348300 0008AC06
	s_mov_b64 exec, s[36:37]                                   // 0000000115D8: BEFE0124
	v_mov_b32_e32 v6, v53                                      // 0000000115DC: 7E0C0335
	s_mov_b64 s[60:61], 0                                      // 0000000115E0: BEBC0180
	v_readlane_b32 s82, v3, 6                                  // 0000000115E4: D2890052 00010D03
	s_and_b32 s82, s82, 0xffffff                               // 0000000115EC: 8652FF52 00FFFFFF
	s_cmp_lt_u32 s82, s66                                      // 0000000115F4: BF0A4252
	s_cselect_b32 s20, s36, s60                                // 0000000115F8: 85143C24
	v_readlane_b32 s82, v3, 7                                  // 0000000115FC: D2890052 00010F03
	s_and_b32 s82, s82, 0xffffff                               // 000000011604: 8652FF52 00FFFFFF
	s_cmp_lt_u32 s82, s66                                      // 00000001160C: BF0A4252
	s_cselect_b32 s21, s36, s60                                // 000000011610: 85153C24
	s_mov_b64 exec, s[20:21]                                   // 000000011614: BEFE0114
	global_atomic_add_f32 v6, v161, s[8:9]                     // 000000011618: DD348000 0008A106
	global_atomic_add_f32 v6, v165, s[8:9] offset:256          // 000000011620: DD348100 0008A506
	global_atomic_add_f32 v6, v169, s[8:9] offset:512          // 000000011628: DD348200 0008A906
	global_atomic_add_f32 v6, v173, s[8:9] offset:768          // 000000011630: DD348300 0008AD06
	s_mov_b64 exec, s[36:37]                                   // 000000011638: BEFE0124
	v_mov_b32_e32 v6, v54                                      // 00000001163C: 7E0C0336
	s_mov_b64 s[60:61], 0                                      // 000000011640: BEBC0180
	v_readlane_b32 s82, v3, 8                                  // 000000011644: D2890052 00011103
	s_and_b32 s82, s82, 0xffffff                               // 00000001164C: 8652FF52 00FFFFFF
	s_cmp_lt_u32 s82, s66                                      // 000000011654: BF0A4252
	s_cselect_b32 s20, s36, s60                                // 000000011658: 85143C24
	v_readlane_b32 s82, v3, 9                                  // 00000001165C: D2890052 00011303
	s_and_b32 s82, s82, 0xffffff                               // 000000011664: 8652FF52 00FFFFFF
	s_cmp_lt_u32 s82, s66                                      // 00000001166C: BF0A4252
	s_cselect_b32 s21, s36, s60                                // 000000011670: 85153C24
	s_mov_b64 exec, s[20:21]                                   // 000000011674: BEFE0114
	global_atomic_add_f32 v6, v176, s[8:9]                     // 000000011678: DD348000 0008B006
	global_atomic_add_f32 v6, v180, s[8:9] offset:256          // 000000011680: DD348100 0008B406
	global_atomic_add_f32 v6, v184, s[8:9] offset:512          // 000000011688: DD348200 0008B806
	global_atomic_add_f32 v6, v188, s[8:9] offset:768          // 000000011690: DD348300 0008BC06
	s_mov_b64 exec, s[36:37]                                   // 000000011698: BEFE0124
	v_mov_b32_e32 v6, v55                                      // 00000001169C: 7E0C0337
	s_mov_b64 s[60:61], 0                                      // 0000000116A0: BEBC0180
	v_readlane_b32 s82, v3, 10                                 // 0000000116A4: D2890052 00011503
	s_and_b32 s82, s82, 0xffffff                               // 0000000116AC: 8652FF52 00FFFFFF
	s_cmp_lt_u32 s82, s66                                      // 0000000116B4: BF0A4252
	s_cselect_b32 s20, s36, s60                                // 0000000116B8: 85143C24
	v_readlane_b32 s82, v3, 11                                 // 0000000116BC: D2890052 00011703
	s_and_b32 s82, s82, 0xffffff                               // 0000000116C4: 8652FF52 00FFFFFF
	s_cmp_lt_u32 s82, s66                                      // 0000000116CC: BF0A4252
	s_cselect_b32 s21, s36, s60                                // 0000000116D0: 85153C24
	s_mov_b64 exec, s[20:21]                                   // 0000000116D4: BEFE0114
	global_atomic_add_f32 v6, v177, s[8:9]                     // 0000000116D8: DD348000 0008B106
	global_atomic_add_f32 v6, v181, s[8:9] offset:256          // 0000000116E0: DD348100 0008B506
	global_atomic_add_f32 v6, v185, s[8:9] offset:512          // 0000000116E8: DD348200 0008B906
	global_atomic_add_f32 v6, v189, s[8:9] offset:768          // 0000000116F0: DD348300 0008BD06
	s_mov_b64 exec, s[36:37]                                   // 0000000116F8: BEFE0124
	v_mov_b32_e32 v6, v56                                      // 0000000116FC: 7E0C0338
	s_mov_b64 s[60:61], 0                                      // 000000011700: BEBC0180
	v_readlane_b32 s82, v3, 12                                 // 000000011704: D2890052 00011903
	s_and_b32 s82, s82, 0xffffff                               // 00000001170C: 8652FF52 00FFFFFF
	s_cmp_lt_u32 s82, s66                                      // 000000011714: BF0A4252
	s_cselect_b32 s20, s36, s60                                // 000000011718: 85143C24
	v_readlane_b32 s82, v3, 13                                 // 00000001171C: D2890052 00011B03
	s_and_b32 s82, s82, 0xffffff                               // 000000011724: 8652FF52 00FFFFFF
	s_cmp_lt_u32 s82, s66                                      // 00000001172C: BF0A4252
	s_cselect_b32 s21, s36, s60                                // 000000011730: 85153C24
	s_mov_b64 exec, s[20:21]                                   // 000000011734: BEFE0114
	global_atomic_add_f32 v6, v192, s[8:9]                     // 000000011738: DD348000 0008C006
	global_atomic_add_f32 v6, v196, s[8:9] offset:256          // 000000011740: DD348100 0008C406
	global_atomic_add_f32 v6, v200, s[8:9] offset:512          // 000000011748: DD348200 0008C806
	global_atomic_add_f32 v6, v204, s[8:9] offset:768          // 000000011750: DD348300 0008CC06
	s_mov_b64 exec, s[36:37]                                   // 000000011758: BEFE0124
	v_mov_b32_e32 v6, v57                                      // 00000001175C: 7E0C0339
	s_mov_b64 s[60:61], 0                                      // 000000011760: BEBC0180
	v_readlane_b32 s82, v3, 14                                 // 000000011764: D2890052 00011D03
	s_and_b32 s82, s82, 0xffffff                               // 00000001176C: 8652FF52 00FFFFFF
	s_cmp_lt_u32 s82, s66                                      // 000000011774: BF0A4252
	s_cselect_b32 s20, s36, s60                                // 000000011778: 85143C24
	v_readlane_b32 s82, v3, 15                                 // 00000001177C: D2890052 00011F03
	s_and_b32 s82, s82, 0xffffff                               // 000000011784: 8652FF52 00FFFFFF
	s_cmp_lt_u32 s82, s66                                      // 00000001178C: BF0A4252
	s_cselect_b32 s21, s36, s60                                // 000000011790: 85153C24
	s_mov_b64 exec, s[20:21]                                   // 000000011794: BEFE0114
	global_atomic_add_f32 v6, v193, s[8:9]                     // 000000011798: DD348000 0008C106
	global_atomic_add_f32 v6, v197, s[8:9] offset:256          // 0000000117A0: DD348100 0008C506
	global_atomic_add_f32 v6, v201, s[8:9] offset:512          // 0000000117A8: DD348200 0008C906
	global_atomic_add_f32 v6, v205, s[8:9] offset:768          // 0000000117B0: DD348300 0008CD06
	s_mov_b64 exec, s[36:37]                                   // 0000000117B8: BEFE0124
	v_mov_b32_e32 v6, v58                                      // 0000000117BC: 7E0C033A
	s_mov_b64 s[60:61], 0                                      // 0000000117C0: BEBC0180
	v_readlane_b32 s82, v3, 16                                 // 0000000117C4: D2890052 00012103
	s_and_b32 s82, s82, 0xffffff                               // 0000000117CC: 8652FF52 00FFFFFF
	s_cmp_lt_u32 s82, s66                                      // 0000000117D4: BF0A4252
	s_cselect_b32 s20, s36, s60                                // 0000000117D8: 85143C24
	v_readlane_b32 s82, v3, 17                                 // 0000000117DC: D2890052 00012303
	s_and_b32 s82, s82, 0xffffff                               // 0000000117E4: 8652FF52 00FFFFFF
	s_cmp_lt_u32 s82, s66                                      // 0000000117EC: BF0A4252
	s_cselect_b32 s21, s36, s60                                // 0000000117F0: 85153C24
	s_mov_b64 exec, s[20:21]                                   // 0000000117F4: BEFE0114
	global_atomic_add_f32 v6, v208, s[8:9]                     // 0000000117F8: DD348000 0008D006
	global_atomic_add_f32 v6, v212, s[8:9] offset:256          // 000000011800: DD348100 0008D406
	global_atomic_add_f32 v6, v216, s[8:9] offset:512          // 000000011808: DD348200 0008D806
	global_atomic_add_f32 v6, v220, s[8:9] offset:768          // 000000011810: DD348300 0008DC06
	s_mov_b64 exec, s[36:37]                                   // 000000011818: BEFE0124
	v_mov_b32_e32 v6, v59                                      // 00000001181C: 7E0C033B
	s_mov_b64 s[60:61], 0                                      // 000000011820: BEBC0180
	v_readlane_b32 s82, v3, 18                                 // 000000011824: D2890052 00012503
	s_and_b32 s82, s82, 0xffffff                               // 00000001182C: 8652FF52 00FFFFFF
	s_cmp_lt_u32 s82, s66                                      // 000000011834: BF0A4252
	s_cselect_b32 s20, s36, s60                                // 000000011838: 85143C24
	v_readlane_b32 s82, v3, 19                                 // 00000001183C: D2890052 00012703
	s_and_b32 s82, s82, 0xffffff                               // 000000011844: 8652FF52 00FFFFFF
	s_cmp_lt_u32 s82, s66                                      // 00000001184C: BF0A4252
	s_cselect_b32 s21, s36, s60                                // 000000011850: 85153C24
	s_mov_b64 exec, s[20:21]                                   // 000000011854: BEFE0114
	global_atomic_add_f32 v6, v209, s[8:9]                     // 000000011858: DD348000 0008D106
	global_atomic_add_f32 v6, v213, s[8:9] offset:256          // 000000011860: DD348100 0008D506
	global_atomic_add_f32 v6, v217, s[8:9] offset:512          // 000000011868: DD348200 0008D906
	global_atomic_add_f32 v6, v221, s[8:9] offset:768          // 000000011870: DD348300 0008DD06
	s_mov_b64 exec, s[36:37]                                   // 000000011878: BEFE0124
	ds_write_b64 v20, v[146:147]                               // 00000001187C: D89A0000 00009214
	ds_write_b64 v20, v[150:151] offset:8704                   // 000000011884: D89A2200 00009614
	ds_write_b64 v20, v[154:155] offset:17408                  // 00000001188C: D89A4400 00009A14
	ds_write_b64 v20, v[158:159] offset:26112                  // 000000011894: D89A6600 00009E14
	ds_write_b64 v20, v[162:163] offset:34816                  // 00000001189C: D89A8800 0000A214
	ds_write_b64 v20, v[166:167] offset:2176                   // 0000000118A4: D89A0880 0000A614
	ds_write_b64 v20, v[170:171] offset:10880                  // 0000000118AC: D89A2A80 0000AA14
	ds_write_b64 v20, v[174:175] offset:19584                  // 0000000118B4: D89A4C80 0000AE14
	ds_write_b64 v20, v[178:179] offset:28288                  // 0000000118BC: D89A6E80 0000B214
	ds_write_b64 v20, v[182:183] offset:36992                  // 0000000118C4: D89A9080 0000B614
	ds_write_b64 v20, v[186:187] offset:4352                   // 0000000118CC: D89A1100 0000BA14
	ds_write_b64 v20, v[190:191] offset:13056                  // 0000000118D4: D89A3300 0000BE14
	ds_write_b64 v20, v[194:195] offset:21760                  // 0000000118DC: D89A5500 0000C214
	ds_write_b64 v20, v[198:199] offset:30464                  // 0000000118E4: D89A7700 0000C614
	ds_write_b64 v20, v[202:203] offset:39168                  // 0000000118EC: D89A9900 0000CA14
	ds_write_b64 v20, v[206:207] offset:6528                   // 0000000118F4: D89A1980 0000CE14
	ds_write_b64 v20, v[210:211] offset:15232                  // 0000000118FC: D89A3B80 0000D214
	ds_write_b64 v20, v[214:215] offset:23936                  // 000000011904: D89A5D80 0000D614
	ds_write_b64 v20, v[218:219] offset:32640                  // 00000001190C: D89A7F80 0000DA14
	ds_write_b64 v20, v[222:223] offset:41344                  // 000000011914: D89AA180 0000DE14
	s_waitcnt lgkmcnt(0)                                       // 00000001191C: BF8CC07F
	s_barrier                                                  // 000000011920: BF8A0000
	ds_read_b32 v146, v21                                      // 000000011924: D86C0000 92000015
	ds_read_b32 v147, v21 offset:64                            // 00000001192C: D86C0040 93000015
	ds_read_b32 v150, v21 offset:2176                          // 000000011934: D86C0880 96000015
	ds_read_b32 v151, v21 offset:2240                          // 00000001193C: D86C08C0 97000015
	ds_read_b32 v154, v21 offset:4352                          // 000000011944: D86C1100 9A000015
	ds_read_b32 v155, v21 offset:4416                          // 00000001194C: D86C1140 9B000015
	ds_read_b32 v158, v21 offset:6528                          // 000000011954: D86C1980 9E000015
	ds_read_b32 v159, v21 offset:6592                          // 00000001195C: D86C19C0 9F000015
	ds_read_b32 v162, v21 offset:8704                          // 000000011964: D86C2200 A2000015
	ds_read_b32 v163, v21 offset:8768                          // 00000001196C: D86C2240 A3000015
	ds_read_b32 v166, v21 offset:10880                         // 000000011974: D86C2A80 A6000015
	ds_read_b32 v167, v21 offset:10944                         // 00000001197C: D86C2AC0 A7000015
	ds_read_b32 v170, v21 offset:13056                         // 000000011984: D86C3300 AA000015
	ds_read_b32 v171, v21 offset:13120                         // 00000001198C: D86C3340 AB000015
	ds_read_b32 v174, v21 offset:15232                         // 000000011994: D86C3B80 AE000015
	ds_read_b32 v175, v21 offset:15296                         // 00000001199C: D86C3BC0 AF000015
	ds_read_b32 v178, v21 offset:17408                         // 0000000119A4: D86C4400 B2000015
	ds_read_b32 v179, v21 offset:17472                         // 0000000119AC: D86C4440 B3000015
	ds_read_b32 v182, v21 offset:19584                         // 0000000119B4: D86C4C80 B6000015
	ds_read_b32 v183, v21 offset:19648                         // 0000000119BC: D86C4CC0 B7000015
	ds_read_b32 v186, v21 offset:21760                         // 0000000119C4: D86C5500 BA000015
	ds_read_b32 v187, v21 offset:21824                         // 0000000119CC: D86C5540 BB000015
	ds_read_b32 v190, v21 offset:23936                         // 0000000119D4: D86C5D80 BE000015
	ds_read_b32 v191, v21 offset:24000                         // 0000000119DC: D86C5DC0 BF000015
	ds_read_b32 v194, v21 offset:26112                         // 0000000119E4: D86C6600 C2000015
	ds_read_b32 v195, v21 offset:26176                         // 0000000119EC: D86C6640 C3000015
	ds_read_b32 v198, v21 offset:28288                         // 0000000119F4: D86C6E80 C6000015
	ds_read_b32 v199, v21 offset:28352                         // 0000000119FC: D86C6EC0 C7000015
	ds_read_b32 v202, v21 offset:30464                         // 000000011A04: D86C7700 CA000015
	ds_read_b32 v203, v21 offset:30528                         // 000000011A0C: D86C7740 CB000015
	ds_read_b32 v206, v21 offset:32640                         // 000000011A14: D86C7F80 CE000015
	ds_read_b32 v207, v21 offset:32704                         // 000000011A1C: D86C7FC0 CF000015
	ds_read_b32 v210, v21 offset:34816                         // 000000011A24: D86C8800 D2000015
	ds_read_b32 v211, v21 offset:34880                         // 000000011A2C: D86C8840 D3000015
	ds_read_b32 v214, v21 offset:36992                         // 000000011A34: D86C9080 D6000015
	ds_read_b32 v215, v21 offset:37056                         // 000000011A3C: D86C90C0 D7000015
	ds_read_b32 v218, v21 offset:39168                         // 000000011A44: D86C9900 DA000015
	ds_read_b32 v219, v21 offset:39232                         // 000000011A4C: D86C9940 DB000015
	ds_read_b32 v222, v21 offset:41344                         // 000000011A54: D86CA180 DE000015
	ds_read_b32 v223, v21 offset:41408                         // 000000011A5C: D86CA1C0 DF000015
	s_waitcnt lgkmcnt(0)                                       // 000000011A64: BF8CC07F
	v_mov_b32_e32 v7, 0                                        // 000000011A68: 7E0E0280
	s_mov_b64 exec, s[36:37]                                   // 000000011A6C: BEFE0124
	v_mov_b32_e32 v6, v50                                      // 000000011A70: 7E0C0332
	s_mov_b64 s[60:61], 0                                      // 000000011A74: BEBC0180
	v_readlane_b32 s82, v3, 0                                  // 000000011A78: D2890052 00010103
	s_and_b32 s82, s82, 0xffffff                               // 000000011A80: 8652FF52 00FFFFFF
	s_cmp_lt_u32 s82, s66                                      // 000000011A88: BF0A4252
	s_cselect_b32 s20, s36, s60                                // 000000011A8C: 85143C24
	v_readlane_b32 s82, v3, 1                                  // 000000011A90: D2890052 00010303
	s_and_b32 s82, s82, 0xffffff                               // 000000011A98: 8652FF52 00FFFFFF
	s_cmp_lt_u32 s82, s66                                      // 000000011AA0: BF0A4252
	s_cselect_b32 s21, s36, s60                                // 000000011AA4: 85153C24
	s_mov_b64 exec, s[20:21]                                   // 000000011AA8: BEFE0114
	global_atomic_add_f32 v6, v146, s[8:9] offset:8            // 000000011AAC: DD348008 00089206
	global_atomic_add_f32 v6, v150, s[8:9] offset:264          // 000000011AB4: DD348108 00089606
	global_atomic_add_f32 v6, v154, s[8:9] offset:520          // 000000011ABC: DD348208 00089A06
	global_atomic_add_f32 v6, v158, s[8:9] offset:776          // 000000011AC4: DD348308 00089E06
	s_mov_b64 exec, s[36:37]                                   // 000000011ACC: BEFE0124
	v_mov_b32_e32 v6, v51                                      // 000000011AD0: 7E0C0333
	s_mov_b64 s[60:61], 0                                      // 000000011AD4: BEBC0180
	v_readlane_b32 s82, v3, 2                                  // 000000011AD8: D2890052 00010503
	s_and_b32 s82, s82, 0xffffff                               // 000000011AE0: 8652FF52 00FFFFFF
	s_cmp_lt_u32 s82, s66                                      // 000000011AE8: BF0A4252
	s_cselect_b32 s20, s36, s60                                // 000000011AEC: 85143C24
	v_readlane_b32 s82, v3, 3                                  // 000000011AF0: D2890052 00010703
	s_and_b32 s82, s82, 0xffffff                               // 000000011AF8: 8652FF52 00FFFFFF
	s_cmp_lt_u32 s82, s66                                      // 000000011B00: BF0A4252
	s_cselect_b32 s21, s36, s60                                // 000000011B04: 85153C24
	s_mov_b64 exec, s[20:21]                                   // 000000011B08: BEFE0114
	global_atomic_add_f32 v6, v147, s[8:9] offset:8            // 000000011B0C: DD348008 00089306
	global_atomic_add_f32 v6, v151, s[8:9] offset:264          // 000000011B14: DD348108 00089706
	global_atomic_add_f32 v6, v155, s[8:9] offset:520          // 000000011B1C: DD348208 00089B06
	global_atomic_add_f32 v6, v159, s[8:9] offset:776          // 000000011B24: DD348308 00089F06
	s_mov_b64 exec, s[36:37]                                   // 000000011B2C: BEFE0124
	v_mov_b32_e32 v6, v52                                      // 000000011B30: 7E0C0334
	s_mov_b64 s[60:61], 0                                      // 000000011B34: BEBC0180
	v_readlane_b32 s82, v3, 4                                  // 000000011B38: D2890052 00010903
	s_and_b32 s82, s82, 0xffffff                               // 000000011B40: 8652FF52 00FFFFFF
	s_cmp_lt_u32 s82, s66                                      // 000000011B48: BF0A4252
	s_cselect_b32 s20, s36, s60                                // 000000011B4C: 85143C24
	v_readlane_b32 s82, v3, 5                                  // 000000011B50: D2890052 00010B03
	s_and_b32 s82, s82, 0xffffff                               // 000000011B58: 8652FF52 00FFFFFF
	s_cmp_lt_u32 s82, s66                                      // 000000011B60: BF0A4252
	s_cselect_b32 s21, s36, s60                                // 000000011B64: 85153C24
	s_mov_b64 exec, s[20:21]                                   // 000000011B68: BEFE0114
	global_atomic_add_f32 v6, v162, s[8:9] offset:8            // 000000011B6C: DD348008 0008A206
	global_atomic_add_f32 v6, v166, s[8:9] offset:264          // 000000011B74: DD348108 0008A606
	global_atomic_add_f32 v6, v170, s[8:9] offset:520          // 000000011B7C: DD348208 0008AA06
	global_atomic_add_f32 v6, v174, s[8:9] offset:776          // 000000011B84: DD348308 0008AE06
	s_mov_b64 exec, s[36:37]                                   // 000000011B8C: BEFE0124
	v_mov_b32_e32 v6, v53                                      // 000000011B90: 7E0C0335
	s_mov_b64 s[60:61], 0                                      // 000000011B94: BEBC0180
	v_readlane_b32 s82, v3, 6                                  // 000000011B98: D2890052 00010D03
	s_and_b32 s82, s82, 0xffffff                               // 000000011BA0: 8652FF52 00FFFFFF
	s_cmp_lt_u32 s82, s66                                      // 000000011BA8: BF0A4252
	s_cselect_b32 s20, s36, s60                                // 000000011BAC: 85143C24
	v_readlane_b32 s82, v3, 7                                  // 000000011BB0: D2890052 00010F03
	s_and_b32 s82, s82, 0xffffff                               // 000000011BB8: 8652FF52 00FFFFFF
	s_cmp_lt_u32 s82, s66                                      // 000000011BC0: BF0A4252
	s_cselect_b32 s21, s36, s60                                // 000000011BC4: 85153C24
	s_mov_b64 exec, s[20:21]                                   // 000000011BC8: BEFE0114
	global_atomic_add_f32 v6, v163, s[8:9] offset:8            // 000000011BCC: DD348008 0008A306
	global_atomic_add_f32 v6, v167, s[8:9] offset:264          // 000000011BD4: DD348108 0008A706
	global_atomic_add_f32 v6, v171, s[8:9] offset:520          // 000000011BDC: DD348208 0008AB06
	global_atomic_add_f32 v6, v175, s[8:9] offset:776          // 000000011BE4: DD348308 0008AF06
	s_mov_b64 exec, s[36:37]                                   // 000000011BEC: BEFE0124
	v_mov_b32_e32 v6, v54                                      // 000000011BF0: 7E0C0336
	s_mov_b64 s[60:61], 0                                      // 000000011BF4: BEBC0180
	v_readlane_b32 s82, v3, 8                                  // 000000011BF8: D2890052 00011103
	s_and_b32 s82, s82, 0xffffff                               // 000000011C00: 8652FF52 00FFFFFF
	s_cmp_lt_u32 s82, s66                                      // 000000011C08: BF0A4252
	s_cselect_b32 s20, s36, s60                                // 000000011C0C: 85143C24
	v_readlane_b32 s82, v3, 9                                  // 000000011C10: D2890052 00011303
	s_and_b32 s82, s82, 0xffffff                               // 000000011C18: 8652FF52 00FFFFFF
	s_cmp_lt_u32 s82, s66                                      // 000000011C20: BF0A4252
	s_cselect_b32 s21, s36, s60                                // 000000011C24: 85153C24
	s_mov_b64 exec, s[20:21]                                   // 000000011C28: BEFE0114
	global_atomic_add_f32 v6, v178, s[8:9] offset:8            // 000000011C2C: DD348008 0008B206
	global_atomic_add_f32 v6, v182, s[8:9] offset:264          // 000000011C34: DD348108 0008B606
	global_atomic_add_f32 v6, v186, s[8:9] offset:520          // 000000011C3C: DD348208 0008BA06
	global_atomic_add_f32 v6, v190, s[8:9] offset:776          // 000000011C44: DD348308 0008BE06
	s_mov_b64 exec, s[36:37]                                   // 000000011C4C: BEFE0124
	v_mov_b32_e32 v6, v55                                      // 000000011C50: 7E0C0337
	s_mov_b64 s[60:61], 0                                      // 000000011C54: BEBC0180
	v_readlane_b32 s82, v3, 10                                 // 000000011C58: D2890052 00011503
	s_and_b32 s82, s82, 0xffffff                               // 000000011C60: 8652FF52 00FFFFFF
	s_cmp_lt_u32 s82, s66                                      // 000000011C68: BF0A4252
	s_cselect_b32 s20, s36, s60                                // 000000011C6C: 85143C24
	v_readlane_b32 s82, v3, 11                                 // 000000011C70: D2890052 00011703
	s_and_b32 s82, s82, 0xffffff                               // 000000011C78: 8652FF52 00FFFFFF
	s_cmp_lt_u32 s82, s66                                      // 000000011C80: BF0A4252
	s_cselect_b32 s21, s36, s60                                // 000000011C84: 85153C24
	s_mov_b64 exec, s[20:21]                                   // 000000011C88: BEFE0114
	global_atomic_add_f32 v6, v179, s[8:9] offset:8            // 000000011C8C: DD348008 0008B306
	global_atomic_add_f32 v6, v183, s[8:9] offset:264          // 000000011C94: DD348108 0008B706
	global_atomic_add_f32 v6, v187, s[8:9] offset:520          // 000000011C9C: DD348208 0008BB06
	global_atomic_add_f32 v6, v191, s[8:9] offset:776          // 000000011CA4: DD348308 0008BF06
	s_mov_b64 exec, s[36:37]                                   // 000000011CAC: BEFE0124
	v_mov_b32_e32 v6, v56                                      // 000000011CB0: 7E0C0338
	s_mov_b64 s[60:61], 0                                      // 000000011CB4: BEBC0180
	v_readlane_b32 s82, v3, 12                                 // 000000011CB8: D2890052 00011903
	s_and_b32 s82, s82, 0xffffff                               // 000000011CC0: 8652FF52 00FFFFFF
	s_cmp_lt_u32 s82, s66                                      // 000000011CC8: BF0A4252
	s_cselect_b32 s20, s36, s60                                // 000000011CCC: 85143C24
	v_readlane_b32 s82, v3, 13                                 // 000000011CD0: D2890052 00011B03
	s_and_b32 s82, s82, 0xffffff                               // 000000011CD8: 8652FF52 00FFFFFF
	s_cmp_lt_u32 s82, s66                                      // 000000011CE0: BF0A4252
	s_cselect_b32 s21, s36, s60                                // 000000011CE4: 85153C24
	s_mov_b64 exec, s[20:21]                                   // 000000011CE8: BEFE0114
	global_atomic_add_f32 v6, v194, s[8:9] offset:8            // 000000011CEC: DD348008 0008C206
	global_atomic_add_f32 v6, v198, s[8:9] offset:264          // 000000011CF4: DD348108 0008C606
	global_atomic_add_f32 v6, v202, s[8:9] offset:520          // 000000011CFC: DD348208 0008CA06
	global_atomic_add_f32 v6, v206, s[8:9] offset:776          // 000000011D04: DD348308 0008CE06
	s_mov_b64 exec, s[36:37]                                   // 000000011D0C: BEFE0124
	v_mov_b32_e32 v6, v57                                      // 000000011D10: 7E0C0339
	s_mov_b64 s[60:61], 0                                      // 000000011D14: BEBC0180
	v_readlane_b32 s82, v3, 14                                 // 000000011D18: D2890052 00011D03
	s_and_b32 s82, s82, 0xffffff                               // 000000011D20: 8652FF52 00FFFFFF
	s_cmp_lt_u32 s82, s66                                      // 000000011D28: BF0A4252
	s_cselect_b32 s20, s36, s60                                // 000000011D2C: 85143C24
	v_readlane_b32 s82, v3, 15                                 // 000000011D30: D2890052 00011F03
	s_and_b32 s82, s82, 0xffffff                               // 000000011D38: 8652FF52 00FFFFFF
	s_cmp_lt_u32 s82, s66                                      // 000000011D40: BF0A4252
	s_cselect_b32 s21, s36, s60                                // 000000011D44: 85153C24
	s_mov_b64 exec, s[20:21]                                   // 000000011D48: BEFE0114
	global_atomic_add_f32 v6, v195, s[8:9] offset:8            // 000000011D4C: DD348008 0008C306
	global_atomic_add_f32 v6, v199, s[8:9] offset:264          // 000000011D54: DD348108 0008C706
	global_atomic_add_f32 v6, v203, s[8:9] offset:520          // 000000011D5C: DD348208 0008CB06
	global_atomic_add_f32 v6, v207, s[8:9] offset:776          // 000000011D64: DD348308 0008CF06
	s_mov_b64 exec, s[36:37]                                   // 000000011D6C: BEFE0124
	v_mov_b32_e32 v6, v58                                      // 000000011D70: 7E0C033A
	s_mov_b64 s[60:61], 0                                      // 000000011D74: BEBC0180
	v_readlane_b32 s82, v3, 16                                 // 000000011D78: D2890052 00012103
	s_and_b32 s82, s82, 0xffffff                               // 000000011D80: 8652FF52 00FFFFFF
	s_cmp_lt_u32 s82, s66                                      // 000000011D88: BF0A4252
	s_cselect_b32 s20, s36, s60                                // 000000011D8C: 85143C24
	v_readlane_b32 s82, v3, 17                                 // 000000011D90: D2890052 00012303
	s_and_b32 s82, s82, 0xffffff                               // 000000011D98: 8652FF52 00FFFFFF
	s_cmp_lt_u32 s82, s66                                      // 000000011DA0: BF0A4252
	s_cselect_b32 s21, s36, s60                                // 000000011DA4: 85153C24
	s_mov_b64 exec, s[20:21]                                   // 000000011DA8: BEFE0114
	global_atomic_add_f32 v6, v210, s[8:9] offset:8            // 000000011DAC: DD348008 0008D206
	global_atomic_add_f32 v6, v214, s[8:9] offset:264          // 000000011DB4: DD348108 0008D606
	global_atomic_add_f32 v6, v218, s[8:9] offset:520          // 000000011DBC: DD348208 0008DA06
	global_atomic_add_f32 v6, v222, s[8:9] offset:776          // 000000011DC4: DD348308 0008DE06
	s_mov_b64 exec, s[36:37]                                   // 000000011DCC: BEFE0124
	v_mov_b32_e32 v6, v59                                      // 000000011DD0: 7E0C033B
	s_mov_b64 s[60:61], 0                                      // 000000011DD4: BEBC0180
	v_readlane_b32 s82, v3, 18                                 // 000000011DD8: D2890052 00012503
	s_and_b32 s82, s82, 0xffffff                               // 000000011DE0: 8652FF52 00FFFFFF
	s_cmp_lt_u32 s82, s66                                      // 000000011DE8: BF0A4252
	s_cselect_b32 s20, s36, s60                                // 000000011DEC: 85143C24
	v_readlane_b32 s82, v3, 19                                 // 000000011DF0: D2890052 00012703
	s_and_b32 s82, s82, 0xffffff                               // 000000011DF8: 8652FF52 00FFFFFF
	s_cmp_lt_u32 s82, s66                                      // 000000011E00: BF0A4252
	s_cselect_b32 s21, s36, s60                                // 000000011E04: 85153C24
	s_mov_b64 exec, s[20:21]                                   // 000000011E08: BEFE0114
	global_atomic_add_f32 v6, v211, s[8:9] offset:8            // 000000011E0C: DD348008 0008D306
	global_atomic_add_f32 v6, v215, s[8:9] offset:264          // 000000011E14: DD348108 0008D706
	global_atomic_add_f32 v6, v219, s[8:9] offset:520          // 000000011E1C: DD348208 0008DB06
	global_atomic_add_f32 v6, v223, s[8:9] offset:776          // 000000011E24: DD348308 0008DF06
	s_mov_b64 exec, s[36:37]                                   // 000000011E2C: BEFE0124
	s_branch label_3D10                                        // 000000011E30: BF820000

0000000000011e34 <label_3D10>:
	s_waitcnt vmcnt(0) expcnt(0) lgkmcnt(0)                    // 000000011E34: BF8C0000
	s_endpgm                                                   // 000000011E38: BF810000
